;; amdgpu-corpus repo=pytorch/pytorch kind=compiled arch=gfx1100 opt=O3
	.text
	.amdgcn_target "amdgcn-amd-amdhsa--gfx1100"
	.amdhsa_code_object_version 6
	.section	.text._ZN7rocprim17ROCPRIM_304000_NS6detail31init_lookback_scan_state_kernelINS1_19lookback_scan_stateIiLb1ELb1EEEEEvT_jjPNS5_10value_typeE,"axG",@progbits,_ZN7rocprim17ROCPRIM_304000_NS6detail31init_lookback_scan_state_kernelINS1_19lookback_scan_stateIiLb1ELb1EEEEEvT_jjPNS5_10value_typeE,comdat
	.protected	_ZN7rocprim17ROCPRIM_304000_NS6detail31init_lookback_scan_state_kernelINS1_19lookback_scan_stateIiLb1ELb1EEEEEvT_jjPNS5_10value_typeE ; -- Begin function _ZN7rocprim17ROCPRIM_304000_NS6detail31init_lookback_scan_state_kernelINS1_19lookback_scan_stateIiLb1ELb1EEEEEvT_jjPNS5_10value_typeE
	.globl	_ZN7rocprim17ROCPRIM_304000_NS6detail31init_lookback_scan_state_kernelINS1_19lookback_scan_stateIiLb1ELb1EEEEEvT_jjPNS5_10value_typeE
	.p2align	8
	.type	_ZN7rocprim17ROCPRIM_304000_NS6detail31init_lookback_scan_state_kernelINS1_19lookback_scan_stateIiLb1ELb1EEEEEvT_jjPNS5_10value_typeE,@function
_ZN7rocprim17ROCPRIM_304000_NS6detail31init_lookback_scan_state_kernelINS1_19lookback_scan_stateIiLb1ELb1EEEEEvT_jjPNS5_10value_typeE: ; @_ZN7rocprim17ROCPRIM_304000_NS6detail31init_lookback_scan_state_kernelINS1_19lookback_scan_stateIiLb1ELb1EEEEEvT_jjPNS5_10value_typeE
; %bb.0:
	s_clause 0x2
	s_load_b32 s6, s[0:1], 0x24
	s_load_b64 s[4:5], s[0:1], 0x10
	s_load_b128 s[0:3], s[0:1], 0x0
	s_waitcnt lgkmcnt(0)
	s_and_b32 s6, s6, 0xffff
	s_cmp_eq_u64 s[4:5], 0
	v_mad_u64_u32 v[1:2], null, s15, s6, v[0:1]
	s_cbranch_scc1 .LBB0_9
; %bb.1:
	s_cmp_lt_u32 s3, s2
	s_mov_b32 s7, 0
	s_cselect_b32 s6, s3, 0
	s_mov_b32 s8, exec_lo
	s_delay_alu instid0(VALU_DEP_1)
	v_cmpx_eq_u32_e64 s6, v1
	s_cbranch_execz .LBB0_8
; %bb.2:
	s_add_i32 s6, s3, 32
	v_mov_b32_e32 v2, 0
	s_lshl_b64 s[6:7], s[6:7], 3
	s_delay_alu instid0(SALU_CYCLE_1) | instskip(SKIP_4) | instid1(VALU_DEP_1)
	s_add_u32 s6, s0, s6
	s_addc_u32 s7, s1, s7
	global_load_b64 v[4:5], v2, s[6:7] glc
	s_waitcnt vmcnt(0)
	v_and_b32_e32 v3, 0xff, v5
	v_cmp_ne_u64_e32 vcc_lo, 0, v[2:3]
	s_cbranch_vccnz .LBB0_7
; %bb.3:
	s_mov_b32 s3, 1
.LBB0_4:                                ; =>This Loop Header: Depth=1
                                        ;     Child Loop BB0_5 Depth 2
	s_delay_alu instid0(SALU_CYCLE_1)
	s_max_u32 s9, s3, 1
.LBB0_5:                                ;   Parent Loop BB0_4 Depth=1
                                        ; =>  This Inner Loop Header: Depth=2
	s_delay_alu instid0(SALU_CYCLE_1)
	s_add_i32 s9, s9, -1
	s_sleep 1
	s_cmp_eq_u32 s9, 0
	s_cbranch_scc0 .LBB0_5
; %bb.6:                                ;   in Loop: Header=BB0_4 Depth=1
	global_load_b64 v[4:5], v2, s[6:7] glc
	s_cmp_lt_u32 s3, 32
	s_cselect_b32 s9, -1, 0
	s_delay_alu instid0(SALU_CYCLE_1) | instskip(SKIP_3) | instid1(VALU_DEP_1)
	s_cmp_lg_u32 s9, 0
	s_addc_u32 s3, s3, 0
	s_waitcnt vmcnt(0)
	v_and_b32_e32 v3, 0xff, v5
	v_cmp_ne_u64_e32 vcc_lo, 0, v[2:3]
	s_cbranch_vccz .LBB0_4
.LBB0_7:
	v_mov_b32_e32 v0, 0
	global_store_b32 v0, v4, s[4:5]
.LBB0_8:
	s_or_b32 exec_lo, exec_lo, s8
.LBB0_9:
	s_delay_alu instid0(VALU_DEP_1)
	v_cmp_gt_u32_e32 vcc_lo, s2, v1
	s_and_saveexec_b32 s2, vcc_lo
	s_cbranch_execz .LBB0_11
; %bb.10:
	v_dual_mov_b32 v3, 0 :: v_dual_add_nc_u32 v2, 32, v1
	s_delay_alu instid0(VALU_DEP_1) | instskip(SKIP_1) | instid1(VALU_DEP_2)
	v_lshlrev_b64 v[4:5], 3, v[2:3]
	v_mov_b32_e32 v2, v3
	v_add_co_u32 v4, vcc_lo, s0, v4
	s_delay_alu instid0(VALU_DEP_3)
	v_add_co_ci_u32_e32 v5, vcc_lo, s1, v5, vcc_lo
	global_store_b64 v[4:5], v[2:3], off
.LBB0_11:
	s_or_b32 exec_lo, exec_lo, s2
	s_delay_alu instid0(SALU_CYCLE_1)
	s_mov_b32 s2, exec_lo
	v_cmpx_gt_u32_e32 32, v1
	s_cbranch_execz .LBB0_13
; %bb.12:
	v_dual_mov_b32 v2, 0 :: v_dual_mov_b32 v3, 0xff
	s_delay_alu instid0(VALU_DEP_1) | instskip(NEXT) | instid1(VALU_DEP_1)
	v_lshlrev_b64 v[0:1], 3, v[1:2]
	v_add_co_u32 v0, vcc_lo, s0, v0
	s_delay_alu instid0(VALU_DEP_2)
	v_add_co_ci_u32_e32 v1, vcc_lo, s1, v1, vcc_lo
	global_store_b64 v[0:1], v[2:3], off
.LBB0_13:
	s_nop 0
	s_sendmsg sendmsg(MSG_DEALLOC_VGPRS)
	s_endpgm
	.section	.rodata,"a",@progbits
	.p2align	6, 0x0
	.amdhsa_kernel _ZN7rocprim17ROCPRIM_304000_NS6detail31init_lookback_scan_state_kernelINS1_19lookback_scan_stateIiLb1ELb1EEEEEvT_jjPNS5_10value_typeE
		.amdhsa_group_segment_fixed_size 0
		.amdhsa_private_segment_fixed_size 0
		.amdhsa_kernarg_size 280
		.amdhsa_user_sgpr_count 15
		.amdhsa_user_sgpr_dispatch_ptr 0
		.amdhsa_user_sgpr_queue_ptr 0
		.amdhsa_user_sgpr_kernarg_segment_ptr 1
		.amdhsa_user_sgpr_dispatch_id 0
		.amdhsa_user_sgpr_private_segment_size 0
		.amdhsa_wavefront_size32 1
		.amdhsa_uses_dynamic_stack 0
		.amdhsa_enable_private_segment 0
		.amdhsa_system_sgpr_workgroup_id_x 1
		.amdhsa_system_sgpr_workgroup_id_y 0
		.amdhsa_system_sgpr_workgroup_id_z 0
		.amdhsa_system_sgpr_workgroup_info 0
		.amdhsa_system_vgpr_workitem_id 0
		.amdhsa_next_free_vgpr 6
		.amdhsa_next_free_sgpr 16
		.amdhsa_reserve_vcc 1
		.amdhsa_float_round_mode_32 0
		.amdhsa_float_round_mode_16_64 0
		.amdhsa_float_denorm_mode_32 3
		.amdhsa_float_denorm_mode_16_64 3
		.amdhsa_dx10_clamp 1
		.amdhsa_ieee_mode 1
		.amdhsa_fp16_overflow 0
		.amdhsa_workgroup_processor_mode 1
		.amdhsa_memory_ordered 1
		.amdhsa_forward_progress 0
		.amdhsa_shared_vgpr_count 0
		.amdhsa_exception_fp_ieee_invalid_op 0
		.amdhsa_exception_fp_denorm_src 0
		.amdhsa_exception_fp_ieee_div_zero 0
		.amdhsa_exception_fp_ieee_overflow 0
		.amdhsa_exception_fp_ieee_underflow 0
		.amdhsa_exception_fp_ieee_inexact 0
		.amdhsa_exception_int_div_zero 0
	.end_amdhsa_kernel
	.section	.text._ZN7rocprim17ROCPRIM_304000_NS6detail31init_lookback_scan_state_kernelINS1_19lookback_scan_stateIiLb1ELb1EEEEEvT_jjPNS5_10value_typeE,"axG",@progbits,_ZN7rocprim17ROCPRIM_304000_NS6detail31init_lookback_scan_state_kernelINS1_19lookback_scan_stateIiLb1ELb1EEEEEvT_jjPNS5_10value_typeE,comdat
.Lfunc_end0:
	.size	_ZN7rocprim17ROCPRIM_304000_NS6detail31init_lookback_scan_state_kernelINS1_19lookback_scan_stateIiLb1ELb1EEEEEvT_jjPNS5_10value_typeE, .Lfunc_end0-_ZN7rocprim17ROCPRIM_304000_NS6detail31init_lookback_scan_state_kernelINS1_19lookback_scan_stateIiLb1ELb1EEEEEvT_jjPNS5_10value_typeE
                                        ; -- End function
	.section	.AMDGPU.csdata,"",@progbits
; Kernel info:
; codeLenInByte = 380
; NumSgprs: 18
; NumVgprs: 6
; ScratchSize: 0
; MemoryBound: 0
; FloatMode: 240
; IeeeMode: 1
; LDSByteSize: 0 bytes/workgroup (compile time only)
; SGPRBlocks: 2
; VGPRBlocks: 0
; NumSGPRsForWavesPerEU: 18
; NumVGPRsForWavesPerEU: 6
; Occupancy: 16
; WaveLimiterHint : 0
; COMPUTE_PGM_RSRC2:SCRATCH_EN: 0
; COMPUTE_PGM_RSRC2:USER_SGPR: 15
; COMPUTE_PGM_RSRC2:TRAP_HANDLER: 0
; COMPUTE_PGM_RSRC2:TGID_X_EN: 1
; COMPUTE_PGM_RSRC2:TGID_Y_EN: 0
; COMPUTE_PGM_RSRC2:TGID_Z_EN: 0
; COMPUTE_PGM_RSRC2:TIDIG_COMP_CNT: 0
	.section	.text._ZN7rocprim17ROCPRIM_304000_NS6detail31init_lookback_scan_state_kernelINS1_19lookback_scan_stateIiLb0ELb1EEEEEvT_jjPNS5_10value_typeE,"axG",@progbits,_ZN7rocprim17ROCPRIM_304000_NS6detail31init_lookback_scan_state_kernelINS1_19lookback_scan_stateIiLb0ELb1EEEEEvT_jjPNS5_10value_typeE,comdat
	.protected	_ZN7rocprim17ROCPRIM_304000_NS6detail31init_lookback_scan_state_kernelINS1_19lookback_scan_stateIiLb0ELb1EEEEEvT_jjPNS5_10value_typeE ; -- Begin function _ZN7rocprim17ROCPRIM_304000_NS6detail31init_lookback_scan_state_kernelINS1_19lookback_scan_stateIiLb0ELb1EEEEEvT_jjPNS5_10value_typeE
	.globl	_ZN7rocprim17ROCPRIM_304000_NS6detail31init_lookback_scan_state_kernelINS1_19lookback_scan_stateIiLb0ELb1EEEEEvT_jjPNS5_10value_typeE
	.p2align	8
	.type	_ZN7rocprim17ROCPRIM_304000_NS6detail31init_lookback_scan_state_kernelINS1_19lookback_scan_stateIiLb0ELb1EEEEEvT_jjPNS5_10value_typeE,@function
_ZN7rocprim17ROCPRIM_304000_NS6detail31init_lookback_scan_state_kernelINS1_19lookback_scan_stateIiLb0ELb1EEEEEvT_jjPNS5_10value_typeE: ; @_ZN7rocprim17ROCPRIM_304000_NS6detail31init_lookback_scan_state_kernelINS1_19lookback_scan_stateIiLb0ELb1EEEEEvT_jjPNS5_10value_typeE
; %bb.0:
	s_clause 0x2
	s_load_b32 s6, s[0:1], 0x24
	s_load_b64 s[4:5], s[0:1], 0x10
	s_load_b128 s[0:3], s[0:1], 0x0
	s_waitcnt lgkmcnt(0)
	s_and_b32 s6, s6, 0xffff
	s_cmp_eq_u64 s[4:5], 0
	v_mad_u64_u32 v[1:2], null, s15, s6, v[0:1]
	s_cbranch_scc1 .LBB1_6
; %bb.1:
	s_cmp_lt_u32 s3, s2
	s_mov_b32 s7, 0
	s_cselect_b32 s6, s3, 0
	s_mov_b32 s8, exec_lo
	s_delay_alu instid0(VALU_DEP_1)
	v_cmpx_eq_u32_e64 s6, v1
	s_cbranch_execz .LBB1_5
; %bb.2:
	s_add_i32 s6, s3, 32
	v_mov_b32_e32 v4, 0
	s_lshl_b64 s[6:7], s[6:7], 3
	s_delay_alu instid0(SALU_CYCLE_1) | instskip(SKIP_4) | instid1(VALU_DEP_1)
	s_add_u32 s6, s0, s6
	s_addc_u32 s7, s1, s7
	global_load_b64 v[2:3], v4, s[6:7] glc
	s_waitcnt vmcnt(0)
	v_and_b32_e32 v5, 0xff, v3
	v_cmp_ne_u64_e32 vcc_lo, 0, v[4:5]
	s_cbranch_vccnz .LBB1_4
.LBB1_3:                                ; =>This Inner Loop Header: Depth=1
	global_load_b64 v[2:3], v4, s[6:7] glc
	s_waitcnt vmcnt(0)
	v_and_b32_e32 v5, 0xff, v3
	s_delay_alu instid0(VALU_DEP_1)
	v_cmp_eq_u64_e32 vcc_lo, 0, v[4:5]
	s_cbranch_vccnz .LBB1_3
.LBB1_4:
	v_mov_b32_e32 v0, 0
	global_store_b32 v0, v2, s[4:5]
.LBB1_5:
	s_or_b32 exec_lo, exec_lo, s8
.LBB1_6:
	s_delay_alu instid0(VALU_DEP_1)
	v_cmp_gt_u32_e32 vcc_lo, s2, v1
	s_and_saveexec_b32 s2, vcc_lo
	s_cbranch_execz .LBB1_8
; %bb.7:
	v_dual_mov_b32 v3, 0 :: v_dual_add_nc_u32 v2, 32, v1
	s_delay_alu instid0(VALU_DEP_1) | instskip(SKIP_1) | instid1(VALU_DEP_2)
	v_lshlrev_b64 v[4:5], 3, v[2:3]
	v_mov_b32_e32 v2, v3
	v_add_co_u32 v4, vcc_lo, s0, v4
	s_delay_alu instid0(VALU_DEP_3)
	v_add_co_ci_u32_e32 v5, vcc_lo, s1, v5, vcc_lo
	global_store_b64 v[4:5], v[2:3], off
.LBB1_8:
	s_or_b32 exec_lo, exec_lo, s2
	s_delay_alu instid0(SALU_CYCLE_1)
	s_mov_b32 s2, exec_lo
	v_cmpx_gt_u32_e32 32, v1
	s_cbranch_execz .LBB1_10
; %bb.9:
	v_dual_mov_b32 v2, 0 :: v_dual_mov_b32 v3, 0xff
	s_delay_alu instid0(VALU_DEP_1) | instskip(NEXT) | instid1(VALU_DEP_1)
	v_lshlrev_b64 v[0:1], 3, v[1:2]
	v_add_co_u32 v0, vcc_lo, s0, v0
	s_delay_alu instid0(VALU_DEP_2)
	v_add_co_ci_u32_e32 v1, vcc_lo, s1, v1, vcc_lo
	global_store_b64 v[0:1], v[2:3], off
.LBB1_10:
	s_nop 0
	s_sendmsg sendmsg(MSG_DEALLOC_VGPRS)
	s_endpgm
	.section	.rodata,"a",@progbits
	.p2align	6, 0x0
	.amdhsa_kernel _ZN7rocprim17ROCPRIM_304000_NS6detail31init_lookback_scan_state_kernelINS1_19lookback_scan_stateIiLb0ELb1EEEEEvT_jjPNS5_10value_typeE
		.amdhsa_group_segment_fixed_size 0
		.amdhsa_private_segment_fixed_size 0
		.amdhsa_kernarg_size 280
		.amdhsa_user_sgpr_count 15
		.amdhsa_user_sgpr_dispatch_ptr 0
		.amdhsa_user_sgpr_queue_ptr 0
		.amdhsa_user_sgpr_kernarg_segment_ptr 1
		.amdhsa_user_sgpr_dispatch_id 0
		.amdhsa_user_sgpr_private_segment_size 0
		.amdhsa_wavefront_size32 1
		.amdhsa_uses_dynamic_stack 0
		.amdhsa_enable_private_segment 0
		.amdhsa_system_sgpr_workgroup_id_x 1
		.amdhsa_system_sgpr_workgroup_id_y 0
		.amdhsa_system_sgpr_workgroup_id_z 0
		.amdhsa_system_sgpr_workgroup_info 0
		.amdhsa_system_vgpr_workitem_id 0
		.amdhsa_next_free_vgpr 6
		.amdhsa_next_free_sgpr 16
		.amdhsa_reserve_vcc 1
		.amdhsa_float_round_mode_32 0
		.amdhsa_float_round_mode_16_64 0
		.amdhsa_float_denorm_mode_32 3
		.amdhsa_float_denorm_mode_16_64 3
		.amdhsa_dx10_clamp 1
		.amdhsa_ieee_mode 1
		.amdhsa_fp16_overflow 0
		.amdhsa_workgroup_processor_mode 1
		.amdhsa_memory_ordered 1
		.amdhsa_forward_progress 0
		.amdhsa_shared_vgpr_count 0
		.amdhsa_exception_fp_ieee_invalid_op 0
		.amdhsa_exception_fp_denorm_src 0
		.amdhsa_exception_fp_ieee_div_zero 0
		.amdhsa_exception_fp_ieee_overflow 0
		.amdhsa_exception_fp_ieee_underflow 0
		.amdhsa_exception_fp_ieee_inexact 0
		.amdhsa_exception_int_div_zero 0
	.end_amdhsa_kernel
	.section	.text._ZN7rocprim17ROCPRIM_304000_NS6detail31init_lookback_scan_state_kernelINS1_19lookback_scan_stateIiLb0ELb1EEEEEvT_jjPNS5_10value_typeE,"axG",@progbits,_ZN7rocprim17ROCPRIM_304000_NS6detail31init_lookback_scan_state_kernelINS1_19lookback_scan_stateIiLb0ELb1EEEEEvT_jjPNS5_10value_typeE,comdat
.Lfunc_end1:
	.size	_ZN7rocprim17ROCPRIM_304000_NS6detail31init_lookback_scan_state_kernelINS1_19lookback_scan_stateIiLb0ELb1EEEEEvT_jjPNS5_10value_typeE, .Lfunc_end1-_ZN7rocprim17ROCPRIM_304000_NS6detail31init_lookback_scan_state_kernelINS1_19lookback_scan_stateIiLb0ELb1EEEEEvT_jjPNS5_10value_typeE
                                        ; -- End function
	.section	.AMDGPU.csdata,"",@progbits
; Kernel info:
; codeLenInByte = 332
; NumSgprs: 18
; NumVgprs: 6
; ScratchSize: 0
; MemoryBound: 0
; FloatMode: 240
; IeeeMode: 1
; LDSByteSize: 0 bytes/workgroup (compile time only)
; SGPRBlocks: 2
; VGPRBlocks: 0
; NumSGPRsForWavesPerEU: 18
; NumVGPRsForWavesPerEU: 6
; Occupancy: 16
; WaveLimiterHint : 0
; COMPUTE_PGM_RSRC2:SCRATCH_EN: 0
; COMPUTE_PGM_RSRC2:USER_SGPR: 15
; COMPUTE_PGM_RSRC2:TRAP_HANDLER: 0
; COMPUTE_PGM_RSRC2:TGID_X_EN: 1
; COMPUTE_PGM_RSRC2:TGID_Y_EN: 0
; COMPUTE_PGM_RSRC2:TGID_Z_EN: 0
; COMPUTE_PGM_RSRC2:TIDIG_COMP_CNT: 0
	.section	.text._ZN7rocprim17ROCPRIM_304000_NS6detail20lookback_scan_kernelILNS1_25lookback_scan_determinismE0ELb0ENS1_19wrapped_scan_configINS0_14default_configEiEEPKiPiSt4plusIvEiiNS1_19lookback_scan_stateIiLb1ELb1EEEEEvT2_T3_mT5_T4_T7_jPT6_SK_bb,"axG",@progbits,_ZN7rocprim17ROCPRIM_304000_NS6detail20lookback_scan_kernelILNS1_25lookback_scan_determinismE0ELb0ENS1_19wrapped_scan_configINS0_14default_configEiEEPKiPiSt4plusIvEiiNS1_19lookback_scan_stateIiLb1ELb1EEEEEvT2_T3_mT5_T4_T7_jPT6_SK_bb,comdat
	.protected	_ZN7rocprim17ROCPRIM_304000_NS6detail20lookback_scan_kernelILNS1_25lookback_scan_determinismE0ELb0ENS1_19wrapped_scan_configINS0_14default_configEiEEPKiPiSt4plusIvEiiNS1_19lookback_scan_stateIiLb1ELb1EEEEEvT2_T3_mT5_T4_T7_jPT6_SK_bb ; -- Begin function _ZN7rocprim17ROCPRIM_304000_NS6detail20lookback_scan_kernelILNS1_25lookback_scan_determinismE0ELb0ENS1_19wrapped_scan_configINS0_14default_configEiEEPKiPiSt4plusIvEiiNS1_19lookback_scan_stateIiLb1ELb1EEEEEvT2_T3_mT5_T4_T7_jPT6_SK_bb
	.globl	_ZN7rocprim17ROCPRIM_304000_NS6detail20lookback_scan_kernelILNS1_25lookback_scan_determinismE0ELb0ENS1_19wrapped_scan_configINS0_14default_configEiEEPKiPiSt4plusIvEiiNS1_19lookback_scan_stateIiLb1ELb1EEEEEvT2_T3_mT5_T4_T7_jPT6_SK_bb
	.p2align	8
	.type	_ZN7rocprim17ROCPRIM_304000_NS6detail20lookback_scan_kernelILNS1_25lookback_scan_determinismE0ELb0ENS1_19wrapped_scan_configINS0_14default_configEiEEPKiPiSt4plusIvEiiNS1_19lookback_scan_stateIiLb1ELb1EEEEEvT2_T3_mT5_T4_T7_jPT6_SK_bb,@function
_ZN7rocprim17ROCPRIM_304000_NS6detail20lookback_scan_kernelILNS1_25lookback_scan_determinismE0ELb0ENS1_19wrapped_scan_configINS0_14default_configEiEEPKiPiSt4plusIvEiiNS1_19lookback_scan_stateIiLb1ELb1EEEEEvT2_T3_mT5_T4_T7_jPT6_SK_bb: ; @_ZN7rocprim17ROCPRIM_304000_NS6detail20lookback_scan_kernelILNS1_25lookback_scan_determinismE0ELb0ENS1_19wrapped_scan_configINS0_14default_configEiEEPKiPiSt4plusIvEiiNS1_19lookback_scan_stateIiLb1ELb1EEEEEvT2_T3_mT5_T4_T7_jPT6_SK_bb
; %bb.0:
	s_endpgm
	.section	.rodata,"a",@progbits
	.p2align	6, 0x0
	.amdhsa_kernel _ZN7rocprim17ROCPRIM_304000_NS6detail20lookback_scan_kernelILNS1_25lookback_scan_determinismE0ELb0ENS1_19wrapped_scan_configINS0_14default_configEiEEPKiPiSt4plusIvEiiNS1_19lookback_scan_stateIiLb1ELb1EEEEEvT2_T3_mT5_T4_T7_jPT6_SK_bb
		.amdhsa_group_segment_fixed_size 0
		.amdhsa_private_segment_fixed_size 0
		.amdhsa_kernarg_size 68
		.amdhsa_user_sgpr_count 15
		.amdhsa_user_sgpr_dispatch_ptr 0
		.amdhsa_user_sgpr_queue_ptr 0
		.amdhsa_user_sgpr_kernarg_segment_ptr 1
		.amdhsa_user_sgpr_dispatch_id 0
		.amdhsa_user_sgpr_private_segment_size 0
		.amdhsa_wavefront_size32 1
		.amdhsa_uses_dynamic_stack 0
		.amdhsa_enable_private_segment 0
		.amdhsa_system_sgpr_workgroup_id_x 1
		.amdhsa_system_sgpr_workgroup_id_y 0
		.amdhsa_system_sgpr_workgroup_id_z 0
		.amdhsa_system_sgpr_workgroup_info 0
		.amdhsa_system_vgpr_workitem_id 0
		.amdhsa_next_free_vgpr 1
		.amdhsa_next_free_sgpr 1
		.amdhsa_reserve_vcc 0
		.amdhsa_float_round_mode_32 0
		.amdhsa_float_round_mode_16_64 0
		.amdhsa_float_denorm_mode_32 3
		.amdhsa_float_denorm_mode_16_64 3
		.amdhsa_dx10_clamp 1
		.amdhsa_ieee_mode 1
		.amdhsa_fp16_overflow 0
		.amdhsa_workgroup_processor_mode 1
		.amdhsa_memory_ordered 1
		.amdhsa_forward_progress 0
		.amdhsa_shared_vgpr_count 0
		.amdhsa_exception_fp_ieee_invalid_op 0
		.amdhsa_exception_fp_denorm_src 0
		.amdhsa_exception_fp_ieee_div_zero 0
		.amdhsa_exception_fp_ieee_overflow 0
		.amdhsa_exception_fp_ieee_underflow 0
		.amdhsa_exception_fp_ieee_inexact 0
		.amdhsa_exception_int_div_zero 0
	.end_amdhsa_kernel
	.section	.text._ZN7rocprim17ROCPRIM_304000_NS6detail20lookback_scan_kernelILNS1_25lookback_scan_determinismE0ELb0ENS1_19wrapped_scan_configINS0_14default_configEiEEPKiPiSt4plusIvEiiNS1_19lookback_scan_stateIiLb1ELb1EEEEEvT2_T3_mT5_T4_T7_jPT6_SK_bb,"axG",@progbits,_ZN7rocprim17ROCPRIM_304000_NS6detail20lookback_scan_kernelILNS1_25lookback_scan_determinismE0ELb0ENS1_19wrapped_scan_configINS0_14default_configEiEEPKiPiSt4plusIvEiiNS1_19lookback_scan_stateIiLb1ELb1EEEEEvT2_T3_mT5_T4_T7_jPT6_SK_bb,comdat
.Lfunc_end2:
	.size	_ZN7rocprim17ROCPRIM_304000_NS6detail20lookback_scan_kernelILNS1_25lookback_scan_determinismE0ELb0ENS1_19wrapped_scan_configINS0_14default_configEiEEPKiPiSt4plusIvEiiNS1_19lookback_scan_stateIiLb1ELb1EEEEEvT2_T3_mT5_T4_T7_jPT6_SK_bb, .Lfunc_end2-_ZN7rocprim17ROCPRIM_304000_NS6detail20lookback_scan_kernelILNS1_25lookback_scan_determinismE0ELb0ENS1_19wrapped_scan_configINS0_14default_configEiEEPKiPiSt4plusIvEiiNS1_19lookback_scan_stateIiLb1ELb1EEEEEvT2_T3_mT5_T4_T7_jPT6_SK_bb
                                        ; -- End function
	.section	.AMDGPU.csdata,"",@progbits
; Kernel info:
; codeLenInByte = 4
; NumSgprs: 0
; NumVgprs: 0
; ScratchSize: 0
; MemoryBound: 0
; FloatMode: 240
; IeeeMode: 1
; LDSByteSize: 0 bytes/workgroup (compile time only)
; SGPRBlocks: 0
; VGPRBlocks: 0
; NumSGPRsForWavesPerEU: 1
; NumVGPRsForWavesPerEU: 1
; Occupancy: 16
; WaveLimiterHint : 0
; COMPUTE_PGM_RSRC2:SCRATCH_EN: 0
; COMPUTE_PGM_RSRC2:USER_SGPR: 15
; COMPUTE_PGM_RSRC2:TRAP_HANDLER: 0
; COMPUTE_PGM_RSRC2:TGID_X_EN: 1
; COMPUTE_PGM_RSRC2:TGID_Y_EN: 0
; COMPUTE_PGM_RSRC2:TGID_Z_EN: 0
; COMPUTE_PGM_RSRC2:TIDIG_COMP_CNT: 0
	.section	.text._ZN7rocprim17ROCPRIM_304000_NS6detail20lookback_scan_kernelILNS1_25lookback_scan_determinismE0ELb0ENS1_19wrapped_scan_configINS0_14default_configEiEEPKiPiSt4plusIvEiiNS1_19lookback_scan_stateIiLb0ELb1EEEEEvT2_T3_mT5_T4_T7_jPT6_SK_bb,"axG",@progbits,_ZN7rocprim17ROCPRIM_304000_NS6detail20lookback_scan_kernelILNS1_25lookback_scan_determinismE0ELb0ENS1_19wrapped_scan_configINS0_14default_configEiEEPKiPiSt4plusIvEiiNS1_19lookback_scan_stateIiLb0ELb1EEEEEvT2_T3_mT5_T4_T7_jPT6_SK_bb,comdat
	.protected	_ZN7rocprim17ROCPRIM_304000_NS6detail20lookback_scan_kernelILNS1_25lookback_scan_determinismE0ELb0ENS1_19wrapped_scan_configINS0_14default_configEiEEPKiPiSt4plusIvEiiNS1_19lookback_scan_stateIiLb0ELb1EEEEEvT2_T3_mT5_T4_T7_jPT6_SK_bb ; -- Begin function _ZN7rocprim17ROCPRIM_304000_NS6detail20lookback_scan_kernelILNS1_25lookback_scan_determinismE0ELb0ENS1_19wrapped_scan_configINS0_14default_configEiEEPKiPiSt4plusIvEiiNS1_19lookback_scan_stateIiLb0ELb1EEEEEvT2_T3_mT5_T4_T7_jPT6_SK_bb
	.globl	_ZN7rocprim17ROCPRIM_304000_NS6detail20lookback_scan_kernelILNS1_25lookback_scan_determinismE0ELb0ENS1_19wrapped_scan_configINS0_14default_configEiEEPKiPiSt4plusIvEiiNS1_19lookback_scan_stateIiLb0ELb1EEEEEvT2_T3_mT5_T4_T7_jPT6_SK_bb
	.p2align	8
	.type	_ZN7rocprim17ROCPRIM_304000_NS6detail20lookback_scan_kernelILNS1_25lookback_scan_determinismE0ELb0ENS1_19wrapped_scan_configINS0_14default_configEiEEPKiPiSt4plusIvEiiNS1_19lookback_scan_stateIiLb0ELb1EEEEEvT2_T3_mT5_T4_T7_jPT6_SK_bb,@function
_ZN7rocprim17ROCPRIM_304000_NS6detail20lookback_scan_kernelILNS1_25lookback_scan_determinismE0ELb0ENS1_19wrapped_scan_configINS0_14default_configEiEEPKiPiSt4plusIvEiiNS1_19lookback_scan_stateIiLb0ELb1EEEEEvT2_T3_mT5_T4_T7_jPT6_SK_bb: ; @_ZN7rocprim17ROCPRIM_304000_NS6detail20lookback_scan_kernelILNS1_25lookback_scan_determinismE0ELb0ENS1_19wrapped_scan_configINS0_14default_configEiEEPKiPiSt4plusIvEiiNS1_19lookback_scan_stateIiLb0ELb1EEEEEvT2_T3_mT5_T4_T7_jPT6_SK_bb
; %bb.0:
	s_clause 0x2
	s_load_b32 s10, s[0:1], 0x28
	s_load_b64 s[2:3], s[0:1], 0x10
	s_load_b128 s[4:7], s[0:1], 0x0
	s_lshl_b32 s8, s15, 10
	s_mov_b32 s9, 0
	v_lshlrev_b32_e32 v48, 2, v0
	v_lshrrev_b32_e32 v19, 3, v0
	v_or_b32_e32 v47, 64, v0
	v_or_b32_e32 v46, 0x80, v0
	;; [unrolled: 1-line block ×13, first 2 shown]
	s_waitcnt lgkmcnt(0)
	s_add_i32 s10, s10, -1
	v_or_b32_e32 v34, 0x380, v0
	s_lshl_b32 s11, s10, 10
	v_or_b32_e32 v33, 0x3c0, v0
	s_sub_u32 s14, s2, s11
	s_subb_u32 s33, s3, 0
	s_cmp_lg_u32 s15, s10
	s_mov_b32 s3, -1
	s_cselect_b32 s34, -1, 0
	s_lshl_b64 s[12:13], s[8:9], 2
	s_delay_alu instid0(SALU_CYCLE_1)
	s_add_u32 s4, s4, s12
	s_addc_u32 s5, s5, s13
	s_and_b32 vcc_lo, exec_lo, s34
	s_cbranch_vccz .LBB3_2
; %bb.1:
	s_clause 0xf
	global_load_b32 v1, v48, s[4:5]
	global_load_b32 v2, v48, s[4:5] offset:256
	global_load_b32 v3, v48, s[4:5] offset:512
	;; [unrolled: 1-line block ×15, first 2 shown]
	v_lshrrev_b32_e32 v18, 3, v47
	v_lshrrev_b32_e32 v20, 3, v46
	;; [unrolled: 1-line block ×4, first 2 shown]
	v_and_b32_e32 v17, 4, v19
	v_lshrrev_b32_e32 v23, 3, v43
	v_lshrrev_b32_e32 v24, 3, v42
	;; [unrolled: 1-line block ×11, first 2 shown]
	v_and_b32_e32 v18, 12, v18
	v_and_b32_e32 v20, 20, v20
	;; [unrolled: 1-line block ×4, first 2 shown]
	v_add_nc_u32_e32 v17, v17, v48
	v_and_b32_e32 v23, 44, v23
	v_and_b32_e32 v24, 52, v24
	;; [unrolled: 1-line block ×11, first 2 shown]
	v_add_nc_u32_e32 v18, v18, v48
	v_add_nc_u32_e32 v20, v20, v48
	;; [unrolled: 1-line block ×4, first 2 shown]
	s_mov_b32 s3, 0
	v_add_nc_u32_e32 v23, v23, v48
	v_add_nc_u32_e32 v24, v24, v48
	;; [unrolled: 1-line block ×11, first 2 shown]
	s_waitcnt vmcnt(15)
	ds_store_b32 v17, v1
	s_waitcnt vmcnt(14)
	ds_store_b32 v18, v2 offset:256
	s_waitcnt vmcnt(13)
	ds_store_b32 v20, v3 offset:512
	;; [unrolled: 2-line block ×15, first 2 shown]
	s_waitcnt lgkmcnt(0)
	s_barrier
.LBB3_2:
	v_cmp_gt_u32_e64 s2, s14, v0
	s_and_not1_b32 vcc_lo, exec_lo, s3
	s_cbranch_vccnz .LBB3_21
; %bb.3:
	s_load_b32 s16, s[4:5], 0x0
	v_add_co_u32 v17, s3, s4, v48
	s_delay_alu instid0(VALU_DEP_1)
	v_add_co_ci_u32_e64 v18, null, s5, 0, s3
	s_waitcnt lgkmcnt(0)
	s_mov_b32 s17, s16
	s_mov_b32 s18, s16
	s_mov_b32 s19, s16
	s_mov_b32 s20, s16
	s_mov_b32 s21, s16
	s_mov_b32 s22, s16
	s_mov_b32 s23, s16
	s_mov_b32 s24, s16
	s_mov_b32 s25, s16
	s_mov_b32 s26, s16
	s_mov_b32 s27, s16
	s_mov_b32 s28, s16
	s_mov_b32 s29, s16
	s_mov_b32 s30, s16
	s_mov_b32 s31, s16
	v_dual_mov_b32 v1, s16 :: v_dual_mov_b32 v2, s17
	v_dual_mov_b32 v3, s18 :: v_dual_mov_b32 v4, s19
	;; [unrolled: 1-line block ×8, first 2 shown]
	v_mov_b32_e32 v20, s16
	s_and_saveexec_b32 s3, s2
	s_cbranch_execnz .LBB3_132
; %bb.4:
	s_or_b32 exec_lo, exec_lo, s3
	s_delay_alu instid0(SALU_CYCLE_1)
	s_mov_b32 s2, exec_lo
	v_cmpx_gt_u32_e64 s14, v47
	s_cbranch_execnz .LBB3_133
.LBB3_5:
	s_or_b32 exec_lo, exec_lo, s2
	s_delay_alu instid0(SALU_CYCLE_1)
	s_mov_b32 s2, exec_lo
	v_cmpx_gt_u32_e64 s14, v46
	s_cbranch_execnz .LBB3_134
.LBB3_6:
	s_or_b32 exec_lo, exec_lo, s2
	s_delay_alu instid0(SALU_CYCLE_1)
	s_mov_b32 s2, exec_lo
	v_cmpx_gt_u32_e64 s14, v45
	s_cbranch_execnz .LBB3_135
.LBB3_7:
	s_or_b32 exec_lo, exec_lo, s2
	s_delay_alu instid0(SALU_CYCLE_1)
	s_mov_b32 s2, exec_lo
	v_cmpx_gt_u32_e64 s14, v44
	s_cbranch_execnz .LBB3_136
.LBB3_8:
	s_or_b32 exec_lo, exec_lo, s2
	s_delay_alu instid0(SALU_CYCLE_1)
	s_mov_b32 s2, exec_lo
	v_cmpx_gt_u32_e64 s14, v43
	s_cbranch_execnz .LBB3_137
.LBB3_9:
	s_or_b32 exec_lo, exec_lo, s2
	s_delay_alu instid0(SALU_CYCLE_1)
	s_mov_b32 s2, exec_lo
	v_cmpx_gt_u32_e64 s14, v42
	s_cbranch_execnz .LBB3_138
.LBB3_10:
	s_or_b32 exec_lo, exec_lo, s2
	s_delay_alu instid0(SALU_CYCLE_1)
	s_mov_b32 s2, exec_lo
	v_cmpx_gt_u32_e64 s14, v41
	s_cbranch_execnz .LBB3_139
.LBB3_11:
	s_or_b32 exec_lo, exec_lo, s2
	s_delay_alu instid0(SALU_CYCLE_1)
	s_mov_b32 s2, exec_lo
	v_cmpx_gt_u32_e64 s14, v40
	s_cbranch_execnz .LBB3_140
.LBB3_12:
	s_or_b32 exec_lo, exec_lo, s2
	s_delay_alu instid0(SALU_CYCLE_1)
	s_mov_b32 s2, exec_lo
	v_cmpx_gt_u32_e64 s14, v39
	s_cbranch_execnz .LBB3_141
.LBB3_13:
	s_or_b32 exec_lo, exec_lo, s2
	s_delay_alu instid0(SALU_CYCLE_1)
	s_mov_b32 s2, exec_lo
	v_cmpx_gt_u32_e64 s14, v38
	s_cbranch_execnz .LBB3_142
.LBB3_14:
	s_or_b32 exec_lo, exec_lo, s2
	s_delay_alu instid0(SALU_CYCLE_1)
	s_mov_b32 s2, exec_lo
	v_cmpx_gt_u32_e64 s14, v37
	s_cbranch_execnz .LBB3_143
.LBB3_15:
	s_or_b32 exec_lo, exec_lo, s2
	s_delay_alu instid0(SALU_CYCLE_1)
	s_mov_b32 s2, exec_lo
	v_cmpx_gt_u32_e64 s14, v36
	s_cbranch_execnz .LBB3_144
.LBB3_16:
	s_or_b32 exec_lo, exec_lo, s2
	s_delay_alu instid0(SALU_CYCLE_1)
	s_mov_b32 s2, exec_lo
	v_cmpx_gt_u32_e64 s14, v35
	s_cbranch_execnz .LBB3_145
.LBB3_17:
	s_or_b32 exec_lo, exec_lo, s2
	s_delay_alu instid0(SALU_CYCLE_1)
	s_mov_b32 s2, exec_lo
	v_cmpx_gt_u32_e64 s14, v34
	s_cbranch_execnz .LBB3_146
.LBB3_18:
	s_or_b32 exec_lo, exec_lo, s2
	s_delay_alu instid0(SALU_CYCLE_1)
	s_mov_b32 s2, exec_lo
	v_cmpx_gt_u32_e64 s14, v33
	s_cbranch_execz .LBB3_20
.LBB3_19:
	global_load_b32 v16, v[17:18], off offset:3840
.LBB3_20:
	s_or_b32 exec_lo, exec_lo, s2
	v_lshrrev_b32_e32 v1, 3, v47
	v_lshrrev_b32_e32 v17, 3, v46
	v_and_b32_e32 v18, 4, v19
	v_lshrrev_b32_e32 v19, 3, v45
	v_lshrrev_b32_e32 v21, 3, v44
	v_lshrrev_b32_e32 v22, 3, v43
	v_lshrrev_b32_e32 v23, 3, v42
	v_lshrrev_b32_e32 v24, 3, v41
	v_and_b32_e32 v1, 12, v1
	v_and_b32_e32 v17, 28, v17
	;; [unrolled: 1-line block ×4, first 2 shown]
	v_add_nc_u32_e32 v18, v18, v48
	v_and_b32_e32 v22, 60, v22
	v_and_b32_e32 v23, 60, v23
	;; [unrolled: 1-line block ×3, first 2 shown]
	v_add_nc_u32_e32 v1, v1, v48
	v_add_nc_u32_e32 v17, v17, v48
	v_lshrrev_b32_e32 v25, 3, v40
	v_add_nc_u32_e32 v19, v19, v48
	v_lshrrev_b32_e32 v26, 3, v39
	;; [unrolled: 2-line block ×3, first 2 shown]
	v_add_nc_u32_e32 v22, v22, v48
	v_add_nc_u32_e32 v23, v23, v48
	;; [unrolled: 1-line block ×3, first 2 shown]
	s_waitcnt vmcnt(0)
	ds_store_b32 v18, v20
	ds_store_b32 v1, v2 offset:256
	ds_store_b32 v17, v3 offset:512
	;; [unrolled: 1-line block ×7, first 2 shown]
	v_lshrrev_b32_e32 v4, 3, v37
	v_lshrrev_b32_e32 v5, 3, v36
	v_and_b32_e32 v25, 0x7c, v25
	v_lshrrev_b32_e32 v6, 3, v35
	v_lshrrev_b32_e32 v7, 3, v34
	;; [unrolled: 1-line block ×3, first 2 shown]
	v_and_b32_e32 v26, 0x7c, v26
	v_and_b32_e32 v27, 0x7c, v27
	;; [unrolled: 1-line block ×4, first 2 shown]
	v_add_nc_u32_e32 v1, v25, v48
	v_and_b32_e32 v6, 0x7c, v6
	v_and_b32_e32 v7, 0x7c, v7
	;; [unrolled: 1-line block ×3, first 2 shown]
	v_add_nc_u32_e32 v2, v26, v48
	v_add_nc_u32_e32 v3, v27, v48
	v_add_nc_u32_e32 v4, v4, v48
	v_add_nc_u32_e32 v5, v5, v48
	v_add_nc_u32_e32 v6, v6, v48
	v_add_nc_u32_e32 v7, v7, v48
	v_add_nc_u32_e32 v8, v8, v48
	ds_store_b32 v1, v9 offset:2048
	ds_store_b32 v2, v10 offset:2304
	;; [unrolled: 1-line block ×8, first 2 shown]
	s_waitcnt lgkmcnt(0)
	s_barrier
.LBB3_21:
	v_lshlrev_b32_e32 v1, 4, v0
	v_lshrrev_b32_e32 v50, 1, v0
	buffer_gl0_inv
	s_load_b64 s[4:5], s[0:1], 0x20
	v_lshrrev_b32_e32 v49, 5, v0
	v_cmp_gt_u32_e32 vcc_lo, 32, v0
	v_add_lshl_u32 v1, v50, v1, 2
	s_cmp_lg_u32 s15, 0
	ds_load_2addr_b32 v[29:30], v1 offset1:1
	ds_load_2addr_b32 v[31:32], v1 offset0:2 offset1:3
	ds_load_2addr_b32 v[27:28], v1 offset0:4 offset1:5
	;; [unrolled: 1-line block ×7, first 2 shown]
	s_waitcnt lgkmcnt(0)
	s_barrier
	buffer_gl0_inv
	s_cbranch_scc0 .LBB3_46
; %bb.22:
	v_add_nc_u32_e32 v1, v30, v29
	v_add_lshl_u32 v2, v49, v0, 2
	s_delay_alu instid0(VALU_DEP_2) | instskip(NEXT) | instid1(VALU_DEP_1)
	v_add3_u32 v1, v1, v31, v32
	v_add3_u32 v1, v1, v27, v28
	s_delay_alu instid0(VALU_DEP_1) | instskip(NEXT) | instid1(VALU_DEP_1)
	v_add3_u32 v1, v1, v25, v26
	v_add3_u32 v1, v1, v23, v24
	s_delay_alu instid0(VALU_DEP_1) | instskip(NEXT) | instid1(VALU_DEP_1)
	v_add3_u32 v1, v1, v21, v22
	v_add3_u32 v1, v1, v19, v20
	s_delay_alu instid0(VALU_DEP_1)
	v_add3_u32 v1, v1, v17, v18
	ds_store_b32 v2, v1
	s_waitcnt lgkmcnt(0)
	s_barrier
	buffer_gl0_inv
	s_and_saveexec_b32 s3, vcc_lo
	s_cbranch_execz .LBB3_24
; %bb.23:
	v_lshrrev_b32_e32 v2, 2, v0
	v_mbcnt_lo_u32_b32 v5, -1, 0
	s_delay_alu instid0(VALU_DEP_2) | instskip(NEXT) | instid1(VALU_DEP_2)
	v_and_b32_e32 v2, 12, v2
	v_and_b32_e32 v7, 15, v5
	v_add_nc_u32_e32 v9, -1, v5
	s_delay_alu instid0(VALU_DEP_3) | instskip(NEXT) | instid1(VALU_DEP_3)
	v_lshl_or_b32 v4, v0, 3, v2
	v_cmp_ne_u32_e64 s2, 0, v7
	ds_load_2addr_b32 v[2:3], v4 offset1:1
	s_waitcnt lgkmcnt(0)
	v_add_nc_u32_e32 v6, v3, v2
	s_delay_alu instid0(VALU_DEP_1) | instskip(NEXT) | instid1(VALU_DEP_1)
	v_mov_b32_dpp v8, v6 row_shr:1 row_mask:0xf bank_mask:0xf
	v_cndmask_b32_e64 v8, 0, v8, s2
	v_cmp_lt_u32_e64 s2, 1, v7
	s_delay_alu instid0(VALU_DEP_2) | instskip(NEXT) | instid1(VALU_DEP_1)
	v_add_nc_u32_e32 v6, v8, v6
	v_mov_b32_dpp v8, v6 row_shr:2 row_mask:0xf bank_mask:0xf
	s_delay_alu instid0(VALU_DEP_1) | instskip(SKIP_1) | instid1(VALU_DEP_2)
	v_cndmask_b32_e64 v8, 0, v8, s2
	v_cmp_lt_u32_e64 s2, 3, v7
	v_add_nc_u32_e32 v6, v6, v8
	s_delay_alu instid0(VALU_DEP_1) | instskip(NEXT) | instid1(VALU_DEP_1)
	v_mov_b32_dpp v8, v6 row_shr:4 row_mask:0xf bank_mask:0xf
	v_cndmask_b32_e64 v8, 0, v8, s2
	v_cmp_lt_u32_e64 s2, 7, v7
	s_delay_alu instid0(VALU_DEP_2) | instskip(NEXT) | instid1(VALU_DEP_1)
	v_add_nc_u32_e32 v6, v6, v8
	v_mov_b32_dpp v8, v6 row_shr:8 row_mask:0xf bank_mask:0xf
	s_delay_alu instid0(VALU_DEP_1) | instskip(SKIP_2) | instid1(VALU_DEP_3)
	v_cndmask_b32_e64 v7, 0, v8, s2
	v_bfe_i32 v8, v5, 4, 1
	v_cmp_gt_i32_e64 s2, 0, v9
	v_add_nc_u32_e32 v6, v6, v7
	s_delay_alu instid0(VALU_DEP_2)
	v_cndmask_b32_e64 v5, v9, v5, s2
	v_cmp_eq_u32_e64 s2, 0, v0
	ds_swizzle_b32 v7, v6 offset:swizzle(BROADCAST,32,15)
	v_lshlrev_b32_e32 v5, 2, v5
	s_waitcnt lgkmcnt(0)
	v_and_b32_e32 v7, v8, v7
	s_delay_alu instid0(VALU_DEP_1) | instskip(SKIP_3) | instid1(VALU_DEP_1)
	v_add_nc_u32_e32 v6, v6, v7
	ds_bpermute_b32 v5, v5, v6
	s_waitcnt lgkmcnt(0)
	v_add_nc_u32_e32 v2, v5, v2
	v_cndmask_b32_e64 v1, v2, v1, s2
	s_delay_alu instid0(VALU_DEP_1)
	v_add_nc_u32_e32 v2, v1, v3
	ds_store_2addr_b32 v4, v1, v2 offset1:1
.LBB3_24:
	s_or_b32 exec_lo, exec_lo, s3
	v_cmp_eq_u32_e64 s2, 0, v0
	v_mov_b32_e32 v8, 0
	s_mov_b32 s8, exec_lo
	s_waitcnt lgkmcnt(0)
	s_barrier
	buffer_gl0_inv
	v_cmpx_ne_u32_e32 0, v0
	s_cbranch_execz .LBB3_26
; %bb.25:
	v_add_nc_u32_e32 v1, -1, v0
	s_delay_alu instid0(VALU_DEP_1) | instskip(NEXT) | instid1(VALU_DEP_1)
	v_lshrrev_b32_e32 v2, 5, v1
	v_add_lshl_u32 v1, v2, v1, 2
	ds_load_b32 v8, v1
.LBB3_26:
	s_or_b32 exec_lo, exec_lo, s8
	s_and_saveexec_b32 s10, vcc_lo
	s_cbranch_execz .LBB3_45
; %bb.27:
	v_mov_b32_e32 v4, 0
	v_mbcnt_lo_u32_b32 v16, -1, 0
	ds_load_b32 v1, v4 offset:256
	v_cmp_eq_u32_e64 s3, 0, v16
	s_delay_alu instid0(VALU_DEP_1)
	s_and_saveexec_b32 s11, s3
	s_cbranch_execz .LBB3_29
; %bb.28:
	s_add_i32 s8, s15, 32
	v_mov_b32_e32 v2, 1
	s_lshl_b64 s[8:9], s[8:9], 3
	s_delay_alu instid0(SALU_CYCLE_1)
	s_add_u32 s8, s4, s8
	s_addc_u32 s9, s5, s9
	s_waitcnt lgkmcnt(0)
	global_store_b64 v4, v[1:2], s[8:9]
.LBB3_29:
	s_or_b32 exec_lo, exec_lo, s11
	v_xad_u32 v2, v16, -1, s15
	s_mov_b32 s8, exec_lo
	s_delay_alu instid0(VALU_DEP_1) | instskip(NEXT) | instid1(VALU_DEP_1)
	v_add_nc_u32_e32 v3, 32, v2
	v_lshlrev_b64 v[3:4], 3, v[3:4]
	s_delay_alu instid0(VALU_DEP_1) | instskip(NEXT) | instid1(VALU_DEP_2)
	v_add_co_u32 v6, vcc_lo, s4, v3
	v_add_co_ci_u32_e32 v7, vcc_lo, s5, v4, vcc_lo
	global_load_b64 v[4:5], v[6:7], off glc
	s_waitcnt vmcnt(0)
	v_and_b32_e32 v3, 0xff, v5
	s_delay_alu instid0(VALU_DEP_1)
	v_cmpx_eq_u16_e32 0, v3
	s_cbranch_execz .LBB3_33
; %bb.30:
	s_mov_b32 s9, 0
.LBB3_31:                               ; =>This Inner Loop Header: Depth=1
	global_load_b64 v[4:5], v[6:7], off glc
	s_waitcnt vmcnt(0)
	v_and_b32_e32 v3, 0xff, v5
	s_delay_alu instid0(VALU_DEP_1) | instskip(SKIP_1) | instid1(SALU_CYCLE_1)
	v_cmp_ne_u16_e32 vcc_lo, 0, v3
	s_or_b32 s9, vcc_lo, s9
	s_and_not1_b32 exec_lo, exec_lo, s9
	s_cbranch_execnz .LBB3_31
; %bb.32:
	s_or_b32 exec_lo, exec_lo, s9
.LBB3_33:
	s_delay_alu instid0(SALU_CYCLE_1)
	s_or_b32 exec_lo, exec_lo, s8
	v_cmp_ne_u32_e32 vcc_lo, 31, v16
	v_lshlrev_b32_e64 v10, v16, -1
	v_add_nc_u32_e32 v11, 1, v16
	v_add_nc_u32_e32 v13, 2, v16
	;; [unrolled: 1-line block ×3, first 2 shown]
	v_add_co_ci_u32_e32 v3, vcc_lo, 0, v16, vcc_lo
	v_add_nc_u32_e32 v52, 8, v16
	v_add_nc_u32_e32 v54, 16, v16
	s_delay_alu instid0(VALU_DEP_3)
	v_lshlrev_b32_e32 v9, 2, v3
	v_and_b32_e32 v3, 0xff, v5
	ds_bpermute_b32 v6, v9, v4
	v_cmp_eq_u16_e32 vcc_lo, 2, v3
	v_and_or_b32 v3, vcc_lo, v10, 0x80000000
	v_cmp_gt_u32_e32 vcc_lo, 30, v16
	s_delay_alu instid0(VALU_DEP_2) | instskip(SKIP_1) | instid1(VALU_DEP_2)
	v_ctz_i32_b32_e32 v3, v3
	v_cndmask_b32_e64 v7, 0, 1, vcc_lo
	v_cmp_le_u32_e32 vcc_lo, v11, v3
	s_waitcnt lgkmcnt(0)
	s_delay_alu instid0(VALU_DEP_2) | instskip(NEXT) | instid1(VALU_DEP_1)
	v_dual_cndmask_b32 v6, 0, v6 :: v_dual_lshlrev_b32 v7, 1, v7
	v_add_lshl_u32 v12, v7, v16, 2
	v_cmp_gt_u32_e32 vcc_lo, 28, v16
	s_delay_alu instid0(VALU_DEP_3) | instskip(SKIP_4) | instid1(VALU_DEP_1)
	v_add_nc_u32_e32 v4, v6, v4
	v_cndmask_b32_e64 v7, 0, 1, vcc_lo
	v_cmp_le_u32_e32 vcc_lo, v13, v3
	ds_bpermute_b32 v6, v12, v4
	v_lshlrev_b32_e32 v7, 2, v7
	v_add_lshl_u32 v14, v7, v16, 2
	s_waitcnt lgkmcnt(0)
	v_cndmask_b32_e32 v6, 0, v6, vcc_lo
	v_cmp_gt_u32_e32 vcc_lo, 24, v16
	s_delay_alu instid0(VALU_DEP_2) | instskip(SKIP_4) | instid1(VALU_DEP_1)
	v_add_nc_u32_e32 v4, v4, v6
	v_cndmask_b32_e64 v7, 0, 1, vcc_lo
	v_cmp_le_u32_e32 vcc_lo, v15, v3
	ds_bpermute_b32 v6, v14, v4
	v_lshlrev_b32_e32 v7, 3, v7
	v_add_lshl_u32 v51, v7, v16, 2
	s_waitcnt lgkmcnt(0)
	v_cndmask_b32_e32 v6, 0, v6, vcc_lo
	v_cmp_gt_u32_e32 vcc_lo, 16, v16
	s_delay_alu instid0(VALU_DEP_2) | instskip(SKIP_4) | instid1(VALU_DEP_1)
	v_add_nc_u32_e32 v4, v4, v6
	v_cndmask_b32_e64 v7, 0, 1, vcc_lo
	v_cmp_le_u32_e32 vcc_lo, v52, v3
	ds_bpermute_b32 v6, v51, v4
	v_lshlrev_b32_e32 v7, 4, v7
	v_add_lshl_u32 v53, v7, v16, 2
	s_waitcnt lgkmcnt(0)
	v_cndmask_b32_e32 v6, 0, v6, vcc_lo
	v_cmp_le_u32_e32 vcc_lo, v54, v3
	s_delay_alu instid0(VALU_DEP_2) | instskip(SKIP_3) | instid1(VALU_DEP_1)
	v_add_nc_u32_e32 v4, v4, v6
	ds_bpermute_b32 v6, v53, v4
	s_waitcnt lgkmcnt(0)
	v_cndmask_b32_e32 v3, 0, v6, vcc_lo
	v_dual_mov_b32 v3, 0 :: v_dual_add_nc_u32 v4, v4, v3
	s_branch .LBB3_35
.LBB3_34:                               ;   in Loop: Header=BB3_35 Depth=1
	s_or_b32 exec_lo, exec_lo, s8
	ds_bpermute_b32 v7, v9, v4
	v_and_b32_e32 v6, 0xff, v5
	v_subrev_nc_u32_e32 v2, 32, v2
	s_delay_alu instid0(VALU_DEP_2) | instskip(SKIP_1) | instid1(VALU_DEP_1)
	v_cmp_eq_u16_e32 vcc_lo, 2, v6
	v_and_or_b32 v6, vcc_lo, v10, 0x80000000
	v_ctz_i32_b32_e32 v6, v6
	s_delay_alu instid0(VALU_DEP_1) | instskip(SKIP_3) | instid1(VALU_DEP_2)
	v_cmp_le_u32_e32 vcc_lo, v11, v6
	s_waitcnt lgkmcnt(0)
	v_cndmask_b32_e32 v7, 0, v7, vcc_lo
	v_cmp_le_u32_e32 vcc_lo, v13, v6
	v_add_nc_u32_e32 v4, v7, v4
	ds_bpermute_b32 v7, v12, v4
	s_waitcnt lgkmcnt(0)
	v_cndmask_b32_e32 v7, 0, v7, vcc_lo
	v_cmp_le_u32_e32 vcc_lo, v15, v6
	s_delay_alu instid0(VALU_DEP_2) | instskip(SKIP_4) | instid1(VALU_DEP_2)
	v_add_nc_u32_e32 v4, v4, v7
	ds_bpermute_b32 v7, v14, v4
	s_waitcnt lgkmcnt(0)
	v_cndmask_b32_e32 v7, 0, v7, vcc_lo
	v_cmp_le_u32_e32 vcc_lo, v52, v6
	v_add_nc_u32_e32 v4, v4, v7
	ds_bpermute_b32 v7, v51, v4
	s_waitcnt lgkmcnt(0)
	v_cndmask_b32_e32 v7, 0, v7, vcc_lo
	v_cmp_le_u32_e32 vcc_lo, v54, v6
	s_delay_alu instid0(VALU_DEP_2) | instskip(SKIP_3) | instid1(VALU_DEP_1)
	v_add_nc_u32_e32 v4, v4, v7
	ds_bpermute_b32 v7, v53, v4
	s_waitcnt lgkmcnt(0)
	v_cndmask_b32_e32 v6, 0, v7, vcc_lo
	v_add3_u32 v4, v6, v16, v4
.LBB3_35:                               ; =>This Loop Header: Depth=1
                                        ;     Child Loop BB3_38 Depth 2
	s_delay_alu instid0(VALU_DEP_1) | instskip(NEXT) | instid1(VALU_DEP_1)
	v_dual_mov_b32 v16, v4 :: v_dual_and_b32 v5, 0xff, v5
	v_cmp_ne_u16_e32 vcc_lo, 2, v5
	v_cndmask_b32_e64 v5, 0, 1, vcc_lo
	;;#ASMSTART
	;;#ASMEND
	s_delay_alu instid0(VALU_DEP_1)
	v_cmp_ne_u32_e32 vcc_lo, 0, v5
	s_cmp_lg_u32 vcc_lo, exec_lo
	s_cbranch_scc1 .LBB3_40
; %bb.36:                               ;   in Loop: Header=BB3_35 Depth=1
	v_lshlrev_b64 v[4:5], 3, v[2:3]
	s_mov_b32 s8, exec_lo
	s_delay_alu instid0(VALU_DEP_1) | instskip(NEXT) | instid1(VALU_DEP_2)
	v_add_co_u32 v6, vcc_lo, s4, v4
	v_add_co_ci_u32_e32 v7, vcc_lo, s5, v5, vcc_lo
	global_load_b64 v[4:5], v[6:7], off glc
	s_waitcnt vmcnt(0)
	v_and_b32_e32 v55, 0xff, v5
	s_delay_alu instid0(VALU_DEP_1)
	v_cmpx_eq_u16_e32 0, v55
	s_cbranch_execz .LBB3_34
; %bb.37:                               ;   in Loop: Header=BB3_35 Depth=1
	s_mov_b32 s9, 0
.LBB3_38:                               ;   Parent Loop BB3_35 Depth=1
                                        ; =>  This Inner Loop Header: Depth=2
	global_load_b64 v[4:5], v[6:7], off glc
	s_waitcnt vmcnt(0)
	v_and_b32_e32 v55, 0xff, v5
	s_delay_alu instid0(VALU_DEP_1) | instskip(SKIP_1) | instid1(SALU_CYCLE_1)
	v_cmp_ne_u16_e32 vcc_lo, 0, v55
	s_or_b32 s9, vcc_lo, s9
	s_and_not1_b32 exec_lo, exec_lo, s9
	s_cbranch_execnz .LBB3_38
; %bb.39:                               ;   in Loop: Header=BB3_35 Depth=1
	s_or_b32 exec_lo, exec_lo, s9
	s_branch .LBB3_34
.LBB3_40:                               ;   in Loop: Header=BB3_35 Depth=1
                                        ; implicit-def: $vgpr4
                                        ; implicit-def: $vgpr5
	s_cbranch_execz .LBB3_35
; %bb.41:
	s_and_saveexec_b32 s8, s3
	s_cbranch_execz .LBB3_43
; %bb.42:
	s_add_i32 s16, s15, 32
	s_mov_b32 s17, 0
	v_dual_mov_b32 v3, 0 :: v_dual_mov_b32 v2, 2
	s_lshl_b64 s[16:17], s[16:17], 3
	v_add_nc_u32_e32 v1, v16, v1
	s_add_u32 s16, s4, s16
	s_addc_u32 s17, s5, s17
	global_store_b64 v3, v[1:2], s[16:17]
.LBB3_43:
	s_or_b32 exec_lo, exec_lo, s8
	s_delay_alu instid0(SALU_CYCLE_1)
	s_and_b32 exec_lo, exec_lo, s2
	s_cbranch_execz .LBB3_45
; %bb.44:
	v_mov_b32_e32 v1, 0
	ds_store_b32 v1, v16
.LBB3_45:
	s_or_b32 exec_lo, exec_lo, s10
	v_mov_b32_e32 v1, 0
	s_waitcnt lgkmcnt(0)
	s_waitcnt_vscnt null, 0x0
	s_barrier
	buffer_gl0_inv
	ds_load_b32 v1, v1
	s_waitcnt lgkmcnt(0)
	v_add3_u32 v1, v8, v29, v1
	s_delay_alu instid0(VALU_DEP_1) | instskip(NEXT) | instid1(VALU_DEP_1)
	v_add_nc_u32_e32 v2, v1, v30
	v_add_nc_u32_e32 v3, v2, v31
	s_delay_alu instid0(VALU_DEP_1) | instskip(NEXT) | instid1(VALU_DEP_1)
	v_add_nc_u32_e32 v4, v3, v32
	v_add_nc_u32_e32 v5, v4, v27
	;; [unrolled: 3-line block ×7, first 2 shown]
	s_delay_alu instid0(VALU_DEP_1)
	v_add_nc_u32_e32 v16, v15, v18
	s_load_b128 s[8:11], s[0:1], 0x30
	s_branch .LBB3_56
.LBB3_46:
                                        ; implicit-def: $vgpr1_vgpr2_vgpr3_vgpr4_vgpr5_vgpr6_vgpr7_vgpr8_vgpr9_vgpr10_vgpr11_vgpr12_vgpr13_vgpr14_vgpr15_vgpr16
	s_load_b128 s[8:11], s[0:1], 0x30
	s_cbranch_execz .LBB3_56
; %bb.47:
	s_load_b32 s2, s[0:1], 0x40
	v_cmp_eq_u32_e32 vcc_lo, 0, v0
	s_waitcnt lgkmcnt(0)
	s_bitcmp1_b32 s2, 0
	v_cmp_ne_u32_e64 s2, 0, v0
	s_cselect_b32 s3, -1, 0
	s_delay_alu instid0(SALU_CYCLE_1) | instskip(NEXT) | instid1(SALU_CYCLE_1)
	s_and_b32 s15, vcc_lo, s3
	s_and_saveexec_b32 s3, s15
	s_cbranch_execz .LBB3_49
; %bb.48:
	s_load_b32 s8, s[8:9], 0x0
	s_waitcnt lgkmcnt(0)
	v_add_nc_u32_e32 v29, s8, v29
.LBB3_49:
	s_or_b32 exec_lo, exec_lo, s3
	s_delay_alu instid0(VALU_DEP_1) | instskip(SKIP_2) | instid1(VALU_DEP_2)
	v_add_nc_u32_e32 v1, v30, v29
	v_add_lshl_u32 v2, v49, v0, 2
	s_mov_b32 s8, exec_lo
	v_add3_u32 v1, v1, v31, v32
	s_delay_alu instid0(VALU_DEP_1) | instskip(NEXT) | instid1(VALU_DEP_1)
	v_add3_u32 v1, v1, v27, v28
	v_add3_u32 v1, v1, v25, v26
	s_delay_alu instid0(VALU_DEP_1) | instskip(NEXT) | instid1(VALU_DEP_1)
	v_add3_u32 v1, v1, v23, v24
	;; [unrolled: 3-line block ×3, first 2 shown]
	v_add3_u32 v1, v1, v17, v18
	ds_store_b32 v2, v1
	s_waitcnt lgkmcnt(0)
	s_barrier
	buffer_gl0_inv
	v_cmpx_gt_u32_e32 32, v0
	s_cbranch_execz .LBB3_51
; %bb.50:
	v_lshrrev_b32_e32 v2, 2, v0
	v_mbcnt_lo_u32_b32 v5, -1, 0
	s_delay_alu instid0(VALU_DEP_2) | instskip(NEXT) | instid1(VALU_DEP_2)
	v_and_b32_e32 v2, 12, v2
	v_and_b32_e32 v7, 15, v5
	v_add_nc_u32_e32 v9, -1, v5
	s_delay_alu instid0(VALU_DEP_3) | instskip(NEXT) | instid1(VALU_DEP_3)
	v_lshl_or_b32 v4, v0, 3, v2
	v_cmp_ne_u32_e64 s3, 0, v7
	ds_load_2addr_b32 v[2:3], v4 offset1:1
	s_waitcnt lgkmcnt(0)
	v_add_nc_u32_e32 v6, v3, v2
	s_delay_alu instid0(VALU_DEP_1) | instskip(NEXT) | instid1(VALU_DEP_1)
	v_mov_b32_dpp v8, v6 row_shr:1 row_mask:0xf bank_mask:0xf
	v_cndmask_b32_e64 v8, 0, v8, s3
	v_cmp_lt_u32_e64 s3, 1, v7
	s_delay_alu instid0(VALU_DEP_2) | instskip(NEXT) | instid1(VALU_DEP_1)
	v_add_nc_u32_e32 v6, v8, v6
	v_mov_b32_dpp v8, v6 row_shr:2 row_mask:0xf bank_mask:0xf
	s_delay_alu instid0(VALU_DEP_1) | instskip(SKIP_1) | instid1(VALU_DEP_2)
	v_cndmask_b32_e64 v8, 0, v8, s3
	v_cmp_lt_u32_e64 s3, 3, v7
	v_add_nc_u32_e32 v6, v6, v8
	s_delay_alu instid0(VALU_DEP_1) | instskip(NEXT) | instid1(VALU_DEP_1)
	v_mov_b32_dpp v8, v6 row_shr:4 row_mask:0xf bank_mask:0xf
	v_cndmask_b32_e64 v8, 0, v8, s3
	v_cmp_lt_u32_e64 s3, 7, v7
	s_delay_alu instid0(VALU_DEP_2) | instskip(NEXT) | instid1(VALU_DEP_1)
	v_add_nc_u32_e32 v6, v6, v8
	v_mov_b32_dpp v8, v6 row_shr:8 row_mask:0xf bank_mask:0xf
	s_delay_alu instid0(VALU_DEP_1) | instskip(SKIP_2) | instid1(VALU_DEP_3)
	v_cndmask_b32_e64 v7, 0, v8, s3
	v_bfe_i32 v8, v5, 4, 1
	v_cmp_gt_i32_e64 s3, 0, v9
	v_add_nc_u32_e32 v6, v6, v7
	s_delay_alu instid0(VALU_DEP_2) | instskip(SKIP_4) | instid1(VALU_DEP_1)
	v_cndmask_b32_e64 v5, v9, v5, s3
	ds_swizzle_b32 v7, v6 offset:swizzle(BROADCAST,32,15)
	v_lshlrev_b32_e32 v5, 2, v5
	s_waitcnt lgkmcnt(0)
	v_and_b32_e32 v7, v8, v7
	v_add_nc_u32_e32 v6, v6, v7
	ds_bpermute_b32 v5, v5, v6
	s_waitcnt lgkmcnt(0)
	v_add_nc_u32_e32 v2, v5, v2
	s_delay_alu instid0(VALU_DEP_1) | instskip(NEXT) | instid1(VALU_DEP_1)
	v_cndmask_b32_e32 v1, v2, v1, vcc_lo
	v_add_nc_u32_e32 v2, v1, v3
	ds_store_2addr_b32 v4, v1, v2 offset1:1
.LBB3_51:
	s_or_b32 exec_lo, exec_lo, s8
	v_mov_b32_e32 v1, 0
	s_waitcnt lgkmcnt(0)
	s_barrier
	buffer_gl0_inv
	s_and_saveexec_b32 s3, s2
	s_cbranch_execz .LBB3_53
; %bb.52:
	v_add_nc_u32_e32 v1, -1, v0
	s_delay_alu instid0(VALU_DEP_1) | instskip(NEXT) | instid1(VALU_DEP_1)
	v_lshrrev_b32_e32 v2, 5, v1
	v_add_lshl_u32 v1, v2, v1, 2
	ds_load_b32 v1, v1
.LBB3_53:
	s_or_b32 exec_lo, exec_lo, s3
	s_waitcnt lgkmcnt(0)
	v_add_nc_u32_e32 v1, v1, v29
	s_delay_alu instid0(VALU_DEP_1) | instskip(NEXT) | instid1(VALU_DEP_1)
	v_add_nc_u32_e32 v2, v1, v30
	v_add_nc_u32_e32 v3, v2, v31
	s_delay_alu instid0(VALU_DEP_1) | instskip(NEXT) | instid1(VALU_DEP_1)
	v_add_nc_u32_e32 v4, v3, v32
	;; [unrolled: 3-line block ×7, first 2 shown]
	v_add_nc_u32_e32 v15, v14, v17
	s_delay_alu instid0(VALU_DEP_1)
	v_add_nc_u32_e32 v16, v15, v18
	s_and_saveexec_b32 s2, vcc_lo
	s_cbranch_execz .LBB3_55
; %bb.54:
	v_dual_mov_b32 v19, 0 :: v_dual_mov_b32 v18, 2
	ds_load_b32 v17, v19 offset:256
	s_waitcnt lgkmcnt(0)
	global_store_b64 v19, v[17:18], s[4:5] offset:256
.LBB3_55:
	s_or_b32 exec_lo, exec_lo, s2
.LBB3_56:
	v_lshlrev_b32_e32 v17, 6, v0
	s_add_u32 s2, s6, s12
	s_addc_u32 s3, s7, s13
	s_and_b32 vcc_lo, exec_lo, s34
	s_mov_b32 s4, -1
	s_waitcnt lgkmcnt(0)
	s_waitcnt_vscnt null, 0x0
	s_barrier
	buffer_gl0_inv
	s_cbranch_vccz .LBB3_58
; %bb.57:
	v_lshl_add_u32 v18, v50, 2, v17
	v_lshrrev_b32_e32 v26, 5, v40
	v_lshrrev_b32_e32 v27, 5, v39
	;; [unrolled: 1-line block ×4, first 2 shown]
	ds_store_2addr_b32 v18, v1, v2 offset1:1
	ds_store_2addr_b32 v18, v3, v4 offset0:2 offset1:3
	ds_store_2addr_b32 v18, v5, v6 offset0:4 offset1:5
	ds_store_2addr_b32 v18, v7, v8 offset0:6 offset1:7
	ds_store_2addr_b32 v18, v9, v10 offset0:8 offset1:9
	ds_store_2addr_b32 v18, v11, v12 offset0:10 offset1:11
	ds_store_2addr_b32 v18, v13, v14 offset0:12 offset1:13
	ds_store_2addr_b32 v18, v15, v16 offset0:14 offset1:15
	v_lshrrev_b32_e32 v18, 5, v47
	v_lshrrev_b32_e32 v21, 5, v45
	;; [unrolled: 1-line block ×11, first 2 shown]
	v_add_lshl_u32 v20, v49, v0, 2
	v_add_lshl_u32 v26, v26, v0, 2
	;; [unrolled: 1-line block ×16, first 2 shown]
	s_waitcnt lgkmcnt(0)
	s_barrier
	buffer_gl0_inv
	ds_load_b32 v20, v20
	ds_load_b32 v18, v18 offset:256
	ds_load_b32 v19, v19 offset:512
	;; [unrolled: 1-line block ×15, first 2 shown]
	s_waitcnt lgkmcnt(15)
	global_store_b32 v48, v20, s[2:3]
	s_waitcnt lgkmcnt(14)
	global_store_b32 v48, v18, s[2:3] offset:256
	s_waitcnt lgkmcnt(13)
	global_store_b32 v48, v19, s[2:3] offset:512
	;; [unrolled: 2-line block ×7, first 2 shown]
	s_mov_b32 s4, 0
	s_waitcnt lgkmcnt(7)
	global_store_b32 v48, v26, s[2:3] offset:2048
	s_waitcnt lgkmcnt(6)
	global_store_b32 v48, v27, s[2:3] offset:2304
	;; [unrolled: 2-line block ×8, first 2 shown]
.LBB3_58:
	s_and_not1_b32 vcc_lo, exec_lo, s4
	s_cbranch_vccnz .LBB3_131
; %bb.59:
	v_lshl_add_u32 v17, v50, 2, v17
	ds_store_2addr_b32 v17, v1, v2 offset1:1
	ds_store_2addr_b32 v17, v3, v4 offset0:2 offset1:3
	ds_store_2addr_b32 v17, v5, v6 offset0:4 offset1:5
	;; [unrolled: 1-line block ×7, first 2 shown]
	v_lshrrev_b32_e32 v1, 5, v47
	v_lshrrev_b32_e32 v2, 5, v46
	;; [unrolled: 1-line block ×6, first 2 shown]
	v_add_lshl_u32 v3, v49, v0, 2
	v_lshrrev_b32_e32 v8, 5, v41
	v_add_lshl_u32 v1, v1, v0, 2
	v_lshrrev_b32_e32 v14, 5, v40
	;; [unrolled: 2-line block ×3, first 2 shown]
	v_lshrrev_b32_e32 v16, 5, v38
	v_add_lshl_u32 v9, v4, v0, 2
	v_add_lshl_u32 v10, v5, v0, 2
	;; [unrolled: 1-line block ×4, first 2 shown]
	s_waitcnt lgkmcnt(0)
	s_waitcnt_vscnt null, 0x0
	s_barrier
	buffer_gl0_inv
	v_add_lshl_u32 v13, v8, v0, 2
	ds_load_b32 v5, v3
	ds_load_b32 v4, v1 offset:256
	ds_load_b32 v6, v2 offset:512
	;; [unrolled: 1-line block ×7, first 2 shown]
	v_lshrrev_b32_e32 v12, 5, v37
	v_add_lshl_u32 v1, v14, v0, 2
	v_lshrrev_b32_e32 v13, 5, v36
	v_lshrrev_b32_e32 v14, 5, v35
	v_add_lshl_u32 v2, v15, v0, 2
	v_add_lshl_u32 v3, v16, v0, 2
	v_lshrrev_b32_e32 v15, 5, v34
	v_lshrrev_b32_e32 v16, 5, v33
	v_add_lshl_u32 v17, v12, v0, 2
	v_add_lshl_u32 v18, v13, v0, 2
	;; [unrolled: 1-line block ×5, first 2 shown]
	ds_load_b32 v12, v1 offset:2048
	ds_load_b32 v13, v2 offset:2304
	;; [unrolled: 1-line block ×8, first 2 shown]
	v_add_co_u32 v2, s2, s2, v48
	v_mov_b32_e32 v1, 0
	v_add_co_ci_u32_e64 v3, null, s3, 0, s2
	s_mov_b32 s2, exec_lo
	v_cmpx_gt_u32_e64 s14, v0
	s_cbranch_execnz .LBB3_147
; %bb.60:
	s_or_b32 exec_lo, exec_lo, s2
	s_delay_alu instid0(SALU_CYCLE_1)
	s_mov_b32 s2, exec_lo
	v_cmpx_gt_u32_e64 s14, v47
	s_cbranch_execnz .LBB3_148
.LBB3_61:
	s_or_b32 exec_lo, exec_lo, s2
	s_delay_alu instid0(SALU_CYCLE_1)
	s_mov_b32 s2, exec_lo
	v_cmpx_gt_u32_e64 s14, v46
	s_cbranch_execnz .LBB3_149
.LBB3_62:
	s_or_b32 exec_lo, exec_lo, s2
	s_delay_alu instid0(SALU_CYCLE_1)
	s_mov_b32 s2, exec_lo
	v_cmpx_gt_u32_e64 s14, v45
	s_cbranch_execnz .LBB3_150
.LBB3_63:
	s_or_b32 exec_lo, exec_lo, s2
	s_delay_alu instid0(SALU_CYCLE_1)
	s_mov_b32 s2, exec_lo
	v_cmpx_gt_u32_e64 s14, v44
	s_cbranch_execnz .LBB3_151
.LBB3_64:
	s_or_b32 exec_lo, exec_lo, s2
	s_delay_alu instid0(SALU_CYCLE_1)
	s_mov_b32 s2, exec_lo
	v_cmpx_gt_u32_e64 s14, v43
	s_cbranch_execnz .LBB3_152
.LBB3_65:
	s_or_b32 exec_lo, exec_lo, s2
	s_delay_alu instid0(SALU_CYCLE_1)
	s_mov_b32 s2, exec_lo
	v_cmpx_gt_u32_e64 s14, v42
	s_cbranch_execnz .LBB3_153
.LBB3_66:
	s_or_b32 exec_lo, exec_lo, s2
	s_delay_alu instid0(SALU_CYCLE_1)
	s_mov_b32 s2, exec_lo
	v_cmpx_gt_u32_e64 s14, v41
	s_cbranch_execnz .LBB3_154
.LBB3_67:
	s_or_b32 exec_lo, exec_lo, s2
	s_delay_alu instid0(SALU_CYCLE_1)
	s_mov_b32 s2, exec_lo
	v_cmpx_gt_u32_e64 s14, v40
	s_cbranch_execnz .LBB3_155
.LBB3_68:
	s_or_b32 exec_lo, exec_lo, s2
	s_delay_alu instid0(SALU_CYCLE_1)
	s_mov_b32 s2, exec_lo
	v_cmpx_gt_u32_e64 s14, v39
	s_cbranch_execnz .LBB3_156
.LBB3_69:
	s_or_b32 exec_lo, exec_lo, s2
	s_delay_alu instid0(SALU_CYCLE_1)
	s_mov_b32 s2, exec_lo
	v_cmpx_gt_u32_e64 s14, v38
	s_cbranch_execnz .LBB3_157
.LBB3_70:
	s_or_b32 exec_lo, exec_lo, s2
	s_delay_alu instid0(SALU_CYCLE_1)
	s_mov_b32 s2, exec_lo
	v_cmpx_gt_u32_e64 s14, v37
	s_cbranch_execnz .LBB3_158
.LBB3_71:
	s_or_b32 exec_lo, exec_lo, s2
	s_delay_alu instid0(SALU_CYCLE_1)
	s_mov_b32 s2, exec_lo
	v_cmpx_gt_u32_e64 s14, v36
	s_cbranch_execnz .LBB3_159
.LBB3_72:
	s_or_b32 exec_lo, exec_lo, s2
	s_delay_alu instid0(SALU_CYCLE_1)
	s_mov_b32 s2, exec_lo
	v_cmpx_gt_u32_e64 s14, v35
	s_cbranch_execnz .LBB3_160
.LBB3_73:
	s_or_b32 exec_lo, exec_lo, s2
	s_delay_alu instid0(SALU_CYCLE_1)
	s_mov_b32 s2, exec_lo
	v_cmpx_gt_u32_e64 s14, v34
	s_cbranch_execnz .LBB3_161
.LBB3_74:
	s_or_b32 exec_lo, exec_lo, s2
	s_delay_alu instid0(SALU_CYCLE_1)
	s_mov_b32 s2, exec_lo
	v_cmpx_gt_u32_e64 s14, v33
	s_cbranch_execz .LBB3_76
.LBB3_75:
	s_waitcnt lgkmcnt(0)
	global_store_b32 v[2:3], v19, off offset:3840
.LBB3_76:
	s_or_b32 exec_lo, exec_lo, s2
	s_load_b32 s0, s[0:1], 0x40
	s_waitcnt lgkmcnt(0)
	s_bfe_u32 s0, s0, 0x10008
	s_delay_alu instid0(SALU_CYCLE_1)
	s_cmp_eq_u32 s0, 0
	s_cbranch_scc1 .LBB3_131
; %bb.77:
	s_add_u32 s0, s14, -1
	s_addc_u32 s1, s33, -1
	s_delay_alu instid0(SALU_CYCLE_1)
	s_lshr_b64 s[2:3], s[0:1], 4
	s_mov_b32 s1, exec_lo
	v_cmpx_eq_u64_e64 s[2:3], v[0:1]
	s_cbranch_execz .LBB3_131
; %bb.78:
	s_and_b32 s0, s0, 15
	s_mov_b32 s1, 0
	s_delay_alu instid0(SALU_CYCLE_1) | instskip(NEXT) | instid1(VALU_DEP_1)
	v_cmp_lt_i64_e64 s2, s[0:1], 8
	s_and_b32 vcc_lo, exec_lo, s2
	s_mov_b32 s2, -1
	s_cbranch_vccnz .LBB3_105
; %bb.79:
	v_cmp_lt_i64_e64 s2, s[0:1], 12
	s_delay_alu instid0(VALU_DEP_1)
	s_and_b32 vcc_lo, exec_lo, s2
	s_mov_b32 s2, -1
	s_cbranch_vccnz .LBB3_92
; %bb.80:
	v_cmp_lt_i64_e64 s2, s[0:1], 14
	s_delay_alu instid0(VALU_DEP_1)
	s_and_b32 vcc_lo, exec_lo, s2
	s_mov_b32 s2, -1
	s_cbranch_vccnz .LBB3_86
; %bb.81:
	v_cmp_gt_i64_e64 s2, s[0:1], 14
	s_delay_alu instid0(VALU_DEP_1)
	s_and_b32 vcc_lo, exec_lo, s2
	s_mov_b32 s2, -1
	s_cbranch_vccz .LBB3_83
; %bb.82:
	v_mov_b32_e32 v0, 0
	s_mov_b32 s2, 0
	global_store_b32 v0, v19, s[10:11]
.LBB3_83:
	s_and_not1_b32 vcc_lo, exec_lo, s2
	s_cbranch_vccnz .LBB3_85
; %bb.84:
	v_mov_b32_e32 v0, 0
	global_store_b32 v0, v18, s[10:11]
.LBB3_85:
	s_mov_b32 s2, 0
.LBB3_86:
	s_delay_alu instid0(SALU_CYCLE_1)
	s_and_not1_b32 vcc_lo, exec_lo, s2
	s_cbranch_vccnz .LBB3_91
; %bb.87:
	v_cmp_gt_i64_e64 s2, s[0:1], 12
	s_delay_alu instid0(VALU_DEP_1)
	s_and_b32 vcc_lo, exec_lo, s2
	s_mov_b32 s2, -1
	s_cbranch_vccz .LBB3_89
; %bb.88:
	v_mov_b32_e32 v0, 0
	s_mov_b32 s2, 0
	global_store_b32 v0, v17, s[10:11]
.LBB3_89:
	s_and_not1_b32 vcc_lo, exec_lo, s2
	s_cbranch_vccnz .LBB3_91
; %bb.90:
	v_mov_b32_e32 v0, 0
	global_store_b32 v0, v16, s[10:11]
.LBB3_91:
	s_mov_b32 s2, 0
.LBB3_92:
	s_delay_alu instid0(SALU_CYCLE_1)
	s_and_not1_b32 vcc_lo, exec_lo, s2
	s_cbranch_vccnz .LBB3_104
; %bb.93:
	v_cmp_lt_i64_e64 s2, s[0:1], 10
	s_delay_alu instid0(VALU_DEP_1)
	s_and_b32 vcc_lo, exec_lo, s2
	s_mov_b32 s2, -1
	s_cbranch_vccnz .LBB3_99
; %bb.94:
	v_cmp_gt_i64_e64 s2, s[0:1], 10
	s_delay_alu instid0(VALU_DEP_1)
	s_and_b32 vcc_lo, exec_lo, s2
	s_mov_b32 s2, -1
	s_cbranch_vccz .LBB3_96
; %bb.95:
	v_mov_b32_e32 v0, 0
	s_mov_b32 s2, 0
	global_store_b32 v0, v15, s[10:11]
.LBB3_96:
	s_and_not1_b32 vcc_lo, exec_lo, s2
	s_cbranch_vccnz .LBB3_98
; %bb.97:
	v_mov_b32_e32 v0, 0
	global_store_b32 v0, v14, s[10:11]
.LBB3_98:
	s_mov_b32 s2, 0
.LBB3_99:
	s_delay_alu instid0(SALU_CYCLE_1)
	s_and_not1_b32 vcc_lo, exec_lo, s2
	s_cbranch_vccnz .LBB3_104
; %bb.100:
	v_cmp_gt_i64_e64 s2, s[0:1], 8
	s_delay_alu instid0(VALU_DEP_1)
	s_and_b32 vcc_lo, exec_lo, s2
	s_mov_b32 s2, -1
	s_cbranch_vccz .LBB3_102
; %bb.101:
	v_mov_b32_e32 v0, 0
	s_mov_b32 s2, 0
	global_store_b32 v0, v13, s[10:11]
.LBB3_102:
	s_and_not1_b32 vcc_lo, exec_lo, s2
	s_cbranch_vccnz .LBB3_104
; %bb.103:
	v_mov_b32_e32 v0, 0
	global_store_b32 v0, v12, s[10:11]
.LBB3_104:
	s_mov_b32 s2, 0
.LBB3_105:
	s_delay_alu instid0(SALU_CYCLE_1)
	s_and_not1_b32 vcc_lo, exec_lo, s2
	s_cbranch_vccnz .LBB3_131
; %bb.106:
	v_cmp_lt_i64_e64 s2, s[0:1], 4
	s_delay_alu instid0(VALU_DEP_1)
	s_and_b32 vcc_lo, exec_lo, s2
	s_mov_b32 s2, -1
	s_cbranch_vccnz .LBB3_119
; %bb.107:
	v_cmp_lt_i64_e64 s2, s[0:1], 6
	s_delay_alu instid0(VALU_DEP_1)
	s_and_b32 vcc_lo, exec_lo, s2
	s_mov_b32 s2, -1
	s_cbranch_vccnz .LBB3_113
; %bb.108:
	v_cmp_gt_i64_e64 s2, s[0:1], 6
	s_delay_alu instid0(VALU_DEP_1)
	s_and_b32 vcc_lo, exec_lo, s2
	s_mov_b32 s2, -1
	s_cbranch_vccz .LBB3_110
; %bb.109:
	v_mov_b32_e32 v0, 0
	s_mov_b32 s2, 0
	global_store_b32 v0, v11, s[10:11]
.LBB3_110:
	s_and_not1_b32 vcc_lo, exec_lo, s2
	s_cbranch_vccnz .LBB3_112
; %bb.111:
	v_mov_b32_e32 v0, 0
	global_store_b32 v0, v10, s[10:11]
.LBB3_112:
	s_mov_b32 s2, 0
.LBB3_113:
	s_delay_alu instid0(SALU_CYCLE_1)
	s_and_not1_b32 vcc_lo, exec_lo, s2
	s_cbranch_vccnz .LBB3_118
; %bb.114:
	v_cmp_gt_i64_e64 s2, s[0:1], 4
	s_delay_alu instid0(VALU_DEP_1)
	s_and_b32 vcc_lo, exec_lo, s2
	s_mov_b32 s2, -1
	s_cbranch_vccz .LBB3_116
; %bb.115:
	v_mov_b32_e32 v0, 0
	s_mov_b32 s2, 0
	global_store_b32 v0, v9, s[10:11]
.LBB3_116:
	s_and_not1_b32 vcc_lo, exec_lo, s2
	s_cbranch_vccnz .LBB3_118
; %bb.117:
	v_mov_b32_e32 v0, 0
	global_store_b32 v0, v8, s[10:11]
.LBB3_118:
	s_mov_b32 s2, 0
.LBB3_119:
	s_delay_alu instid0(SALU_CYCLE_1)
	s_and_not1_b32 vcc_lo, exec_lo, s2
	s_cbranch_vccnz .LBB3_131
; %bb.120:
	v_cmp_lt_i64_e64 s2, s[0:1], 2
	s_delay_alu instid0(VALU_DEP_1)
	s_and_b32 vcc_lo, exec_lo, s2
	s_mov_b32 s2, -1
	s_cbranch_vccnz .LBB3_126
; %bb.121:
	v_cmp_gt_i64_e64 s2, s[0:1], 2
	s_delay_alu instid0(VALU_DEP_1)
	s_and_b32 vcc_lo, exec_lo, s2
	s_mov_b32 s2, -1
	s_cbranch_vccz .LBB3_123
; %bb.122:
	v_mov_b32_e32 v0, 0
	s_mov_b32 s2, 0
	global_store_b32 v0, v7, s[10:11]
.LBB3_123:
	s_and_not1_b32 vcc_lo, exec_lo, s2
	s_cbranch_vccnz .LBB3_125
; %bb.124:
	v_mov_b32_e32 v0, 0
	global_store_b32 v0, v6, s[10:11]
.LBB3_125:
	s_mov_b32 s2, 0
.LBB3_126:
	s_delay_alu instid0(SALU_CYCLE_1)
	s_and_not1_b32 vcc_lo, exec_lo, s2
	s_cbranch_vccnz .LBB3_131
; %bb.127:
	s_cmp_eq_u64 s[0:1], 1
	s_mov_b32 s0, -1
	s_cbranch_scc1 .LBB3_129
; %bb.128:
	v_mov_b32_e32 v0, 0
	s_mov_b32 s0, 0
	global_store_b32 v0, v5, s[10:11]
.LBB3_129:
	s_and_not1_b32 vcc_lo, exec_lo, s0
	s_cbranch_vccnz .LBB3_131
; %bb.130:
	v_mov_b32_e32 v0, 0
	global_store_b32 v0, v4, s[10:11]
.LBB3_131:
	s_nop 0
	s_sendmsg sendmsg(MSG_DEALLOC_VGPRS)
	s_endpgm
.LBB3_132:
	global_load_b32 v20, v[17:18], off
	v_dual_mov_b32 v1, s16 :: v_dual_mov_b32 v2, s17
	v_dual_mov_b32 v3, s18 :: v_dual_mov_b32 v4, s19
	;; [unrolled: 1-line block ×8, first 2 shown]
                                        ; kill: def $vgpr1 killed $vgpr20 killed $exec
	s_or_b32 exec_lo, exec_lo, s3
	s_delay_alu instid0(SALU_CYCLE_1)
	s_mov_b32 s2, exec_lo
	v_cmpx_gt_u32_e64 s14, v47
	s_cbranch_execz .LBB3_5
.LBB3_133:
	global_load_b32 v2, v[17:18], off offset:256
	s_or_b32 exec_lo, exec_lo, s2
	s_delay_alu instid0(SALU_CYCLE_1)
	s_mov_b32 s2, exec_lo
	v_cmpx_gt_u32_e64 s14, v46
	s_cbranch_execz .LBB3_6
.LBB3_134:
	global_load_b32 v3, v[17:18], off offset:512
	s_or_b32 exec_lo, exec_lo, s2
	s_delay_alu instid0(SALU_CYCLE_1)
	s_mov_b32 s2, exec_lo
	v_cmpx_gt_u32_e64 s14, v45
	s_cbranch_execz .LBB3_7
.LBB3_135:
	global_load_b32 v4, v[17:18], off offset:768
	s_or_b32 exec_lo, exec_lo, s2
	s_delay_alu instid0(SALU_CYCLE_1)
	s_mov_b32 s2, exec_lo
	v_cmpx_gt_u32_e64 s14, v44
	s_cbranch_execz .LBB3_8
.LBB3_136:
	global_load_b32 v5, v[17:18], off offset:1024
	s_or_b32 exec_lo, exec_lo, s2
	s_delay_alu instid0(SALU_CYCLE_1)
	s_mov_b32 s2, exec_lo
	v_cmpx_gt_u32_e64 s14, v43
	s_cbranch_execz .LBB3_9
.LBB3_137:
	global_load_b32 v6, v[17:18], off offset:1280
	s_or_b32 exec_lo, exec_lo, s2
	s_delay_alu instid0(SALU_CYCLE_1)
	s_mov_b32 s2, exec_lo
	v_cmpx_gt_u32_e64 s14, v42
	s_cbranch_execz .LBB3_10
.LBB3_138:
	global_load_b32 v7, v[17:18], off offset:1536
	s_or_b32 exec_lo, exec_lo, s2
	s_delay_alu instid0(SALU_CYCLE_1)
	s_mov_b32 s2, exec_lo
	v_cmpx_gt_u32_e64 s14, v41
	s_cbranch_execz .LBB3_11
.LBB3_139:
	global_load_b32 v8, v[17:18], off offset:1792
	s_or_b32 exec_lo, exec_lo, s2
	s_delay_alu instid0(SALU_CYCLE_1)
	s_mov_b32 s2, exec_lo
	v_cmpx_gt_u32_e64 s14, v40
	s_cbranch_execz .LBB3_12
.LBB3_140:
	global_load_b32 v9, v[17:18], off offset:2048
	s_or_b32 exec_lo, exec_lo, s2
	s_delay_alu instid0(SALU_CYCLE_1)
	s_mov_b32 s2, exec_lo
	v_cmpx_gt_u32_e64 s14, v39
	s_cbranch_execz .LBB3_13
.LBB3_141:
	global_load_b32 v10, v[17:18], off offset:2304
	s_or_b32 exec_lo, exec_lo, s2
	s_delay_alu instid0(SALU_CYCLE_1)
	s_mov_b32 s2, exec_lo
	v_cmpx_gt_u32_e64 s14, v38
	s_cbranch_execz .LBB3_14
.LBB3_142:
	global_load_b32 v11, v[17:18], off offset:2560
	s_or_b32 exec_lo, exec_lo, s2
	s_delay_alu instid0(SALU_CYCLE_1)
	s_mov_b32 s2, exec_lo
	v_cmpx_gt_u32_e64 s14, v37
	s_cbranch_execz .LBB3_15
.LBB3_143:
	global_load_b32 v12, v[17:18], off offset:2816
	s_or_b32 exec_lo, exec_lo, s2
	s_delay_alu instid0(SALU_CYCLE_1)
	s_mov_b32 s2, exec_lo
	v_cmpx_gt_u32_e64 s14, v36
	s_cbranch_execz .LBB3_16
.LBB3_144:
	global_load_b32 v13, v[17:18], off offset:3072
	s_or_b32 exec_lo, exec_lo, s2
	s_delay_alu instid0(SALU_CYCLE_1)
	s_mov_b32 s2, exec_lo
	v_cmpx_gt_u32_e64 s14, v35
	s_cbranch_execz .LBB3_17
.LBB3_145:
	global_load_b32 v14, v[17:18], off offset:3328
	s_or_b32 exec_lo, exec_lo, s2
	s_delay_alu instid0(SALU_CYCLE_1)
	s_mov_b32 s2, exec_lo
	v_cmpx_gt_u32_e64 s14, v34
	s_cbranch_execz .LBB3_18
.LBB3_146:
	global_load_b32 v15, v[17:18], off offset:3584
	s_or_b32 exec_lo, exec_lo, s2
	s_delay_alu instid0(SALU_CYCLE_1)
	s_mov_b32 s2, exec_lo
	v_cmpx_gt_u32_e64 s14, v33
	s_cbranch_execnz .LBB3_19
	s_branch .LBB3_20
.LBB3_147:
	s_waitcnt lgkmcnt(15)
	global_store_b32 v[2:3], v5, off
	s_or_b32 exec_lo, exec_lo, s2
	s_delay_alu instid0(SALU_CYCLE_1)
	s_mov_b32 s2, exec_lo
	v_cmpx_gt_u32_e64 s14, v47
	s_cbranch_execz .LBB3_61
.LBB3_148:
	s_waitcnt lgkmcnt(14)
	global_store_b32 v[2:3], v4, off offset:256
	s_or_b32 exec_lo, exec_lo, s2
	s_delay_alu instid0(SALU_CYCLE_1)
	s_mov_b32 s2, exec_lo
	v_cmpx_gt_u32_e64 s14, v46
	s_cbranch_execz .LBB3_62
.LBB3_149:
	s_waitcnt lgkmcnt(13)
	global_store_b32 v[2:3], v6, off offset:512
	s_or_b32 exec_lo, exec_lo, s2
	s_delay_alu instid0(SALU_CYCLE_1)
	s_mov_b32 s2, exec_lo
	v_cmpx_gt_u32_e64 s14, v45
	s_cbranch_execz .LBB3_63
.LBB3_150:
	s_waitcnt lgkmcnt(12)
	global_store_b32 v[2:3], v7, off offset:768
	s_or_b32 exec_lo, exec_lo, s2
	s_delay_alu instid0(SALU_CYCLE_1)
	s_mov_b32 s2, exec_lo
	v_cmpx_gt_u32_e64 s14, v44
	s_cbranch_execz .LBB3_64
.LBB3_151:
	s_waitcnt lgkmcnt(11)
	global_store_b32 v[2:3], v8, off offset:1024
	s_or_b32 exec_lo, exec_lo, s2
	s_delay_alu instid0(SALU_CYCLE_1)
	s_mov_b32 s2, exec_lo
	v_cmpx_gt_u32_e64 s14, v43
	s_cbranch_execz .LBB3_65
.LBB3_152:
	s_waitcnt lgkmcnt(10)
	global_store_b32 v[2:3], v9, off offset:1280
	s_or_b32 exec_lo, exec_lo, s2
	s_delay_alu instid0(SALU_CYCLE_1)
	s_mov_b32 s2, exec_lo
	v_cmpx_gt_u32_e64 s14, v42
	s_cbranch_execz .LBB3_66
.LBB3_153:
	s_waitcnt lgkmcnt(9)
	global_store_b32 v[2:3], v10, off offset:1536
	s_or_b32 exec_lo, exec_lo, s2
	s_delay_alu instid0(SALU_CYCLE_1)
	s_mov_b32 s2, exec_lo
	v_cmpx_gt_u32_e64 s14, v41
	s_cbranch_execz .LBB3_67
.LBB3_154:
	s_waitcnt lgkmcnt(8)
	global_store_b32 v[2:3], v11, off offset:1792
	s_or_b32 exec_lo, exec_lo, s2
	s_delay_alu instid0(SALU_CYCLE_1)
	s_mov_b32 s2, exec_lo
	v_cmpx_gt_u32_e64 s14, v40
	s_cbranch_execz .LBB3_68
.LBB3_155:
	s_waitcnt lgkmcnt(7)
	global_store_b32 v[2:3], v12, off offset:2048
	s_or_b32 exec_lo, exec_lo, s2
	s_delay_alu instid0(SALU_CYCLE_1)
	s_mov_b32 s2, exec_lo
	v_cmpx_gt_u32_e64 s14, v39
	s_cbranch_execz .LBB3_69
.LBB3_156:
	s_waitcnt lgkmcnt(6)
	global_store_b32 v[2:3], v13, off offset:2304
	s_or_b32 exec_lo, exec_lo, s2
	s_delay_alu instid0(SALU_CYCLE_1)
	s_mov_b32 s2, exec_lo
	v_cmpx_gt_u32_e64 s14, v38
	s_cbranch_execz .LBB3_70
.LBB3_157:
	s_waitcnt lgkmcnt(5)
	global_store_b32 v[2:3], v14, off offset:2560
	s_or_b32 exec_lo, exec_lo, s2
	s_delay_alu instid0(SALU_CYCLE_1)
	s_mov_b32 s2, exec_lo
	v_cmpx_gt_u32_e64 s14, v37
	s_cbranch_execz .LBB3_71
.LBB3_158:
	s_waitcnt lgkmcnt(4)
	global_store_b32 v[2:3], v15, off offset:2816
	s_or_b32 exec_lo, exec_lo, s2
	s_delay_alu instid0(SALU_CYCLE_1)
	s_mov_b32 s2, exec_lo
	v_cmpx_gt_u32_e64 s14, v36
	s_cbranch_execz .LBB3_72
.LBB3_159:
	s_waitcnt lgkmcnt(3)
	global_store_b32 v[2:3], v16, off offset:3072
	s_or_b32 exec_lo, exec_lo, s2
	s_delay_alu instid0(SALU_CYCLE_1)
	s_mov_b32 s2, exec_lo
	v_cmpx_gt_u32_e64 s14, v35
	s_cbranch_execz .LBB3_73
.LBB3_160:
	s_waitcnt lgkmcnt(2)
	global_store_b32 v[2:3], v17, off offset:3328
	s_or_b32 exec_lo, exec_lo, s2
	s_delay_alu instid0(SALU_CYCLE_1)
	s_mov_b32 s2, exec_lo
	v_cmpx_gt_u32_e64 s14, v34
	s_cbranch_execz .LBB3_74
.LBB3_161:
	s_waitcnt lgkmcnt(1)
	global_store_b32 v[2:3], v18, off offset:3584
	s_or_b32 exec_lo, exec_lo, s2
	s_delay_alu instid0(SALU_CYCLE_1)
	s_mov_b32 s2, exec_lo
	v_cmpx_gt_u32_e64 s14, v33
	s_cbranch_execnz .LBB3_75
	s_branch .LBB3_76
	.section	.rodata,"a",@progbits
	.p2align	6, 0x0
	.amdhsa_kernel _ZN7rocprim17ROCPRIM_304000_NS6detail20lookback_scan_kernelILNS1_25lookback_scan_determinismE0ELb0ENS1_19wrapped_scan_configINS0_14default_configEiEEPKiPiSt4plusIvEiiNS1_19lookback_scan_stateIiLb0ELb1EEEEEvT2_T3_mT5_T4_T7_jPT6_SK_bb
		.amdhsa_group_segment_fixed_size 4224
		.amdhsa_private_segment_fixed_size 0
		.amdhsa_kernarg_size 68
		.amdhsa_user_sgpr_count 15
		.amdhsa_user_sgpr_dispatch_ptr 0
		.amdhsa_user_sgpr_queue_ptr 0
		.amdhsa_user_sgpr_kernarg_segment_ptr 1
		.amdhsa_user_sgpr_dispatch_id 0
		.amdhsa_user_sgpr_private_segment_size 0
		.amdhsa_wavefront_size32 1
		.amdhsa_uses_dynamic_stack 0
		.amdhsa_enable_private_segment 0
		.amdhsa_system_sgpr_workgroup_id_x 1
		.amdhsa_system_sgpr_workgroup_id_y 0
		.amdhsa_system_sgpr_workgroup_id_z 0
		.amdhsa_system_sgpr_workgroup_info 0
		.amdhsa_system_vgpr_workitem_id 0
		.amdhsa_next_free_vgpr 56
		.amdhsa_next_free_sgpr 35
		.amdhsa_reserve_vcc 1
		.amdhsa_float_round_mode_32 0
		.amdhsa_float_round_mode_16_64 0
		.amdhsa_float_denorm_mode_32 3
		.amdhsa_float_denorm_mode_16_64 3
		.amdhsa_dx10_clamp 1
		.amdhsa_ieee_mode 1
		.amdhsa_fp16_overflow 0
		.amdhsa_workgroup_processor_mode 1
		.amdhsa_memory_ordered 1
		.amdhsa_forward_progress 0
		.amdhsa_shared_vgpr_count 0
		.amdhsa_exception_fp_ieee_invalid_op 0
		.amdhsa_exception_fp_denorm_src 0
		.amdhsa_exception_fp_ieee_div_zero 0
		.amdhsa_exception_fp_ieee_overflow 0
		.amdhsa_exception_fp_ieee_underflow 0
		.amdhsa_exception_fp_ieee_inexact 0
		.amdhsa_exception_int_div_zero 0
	.end_amdhsa_kernel
	.section	.text._ZN7rocprim17ROCPRIM_304000_NS6detail20lookback_scan_kernelILNS1_25lookback_scan_determinismE0ELb0ENS1_19wrapped_scan_configINS0_14default_configEiEEPKiPiSt4plusIvEiiNS1_19lookback_scan_stateIiLb0ELb1EEEEEvT2_T3_mT5_T4_T7_jPT6_SK_bb,"axG",@progbits,_ZN7rocprim17ROCPRIM_304000_NS6detail20lookback_scan_kernelILNS1_25lookback_scan_determinismE0ELb0ENS1_19wrapped_scan_configINS0_14default_configEiEEPKiPiSt4plusIvEiiNS1_19lookback_scan_stateIiLb0ELb1EEEEEvT2_T3_mT5_T4_T7_jPT6_SK_bb,comdat
.Lfunc_end3:
	.size	_ZN7rocprim17ROCPRIM_304000_NS6detail20lookback_scan_kernelILNS1_25lookback_scan_determinismE0ELb0ENS1_19wrapped_scan_configINS0_14default_configEiEEPKiPiSt4plusIvEiiNS1_19lookback_scan_stateIiLb0ELb1EEEEEvT2_T3_mT5_T4_T7_jPT6_SK_bb, .Lfunc_end3-_ZN7rocprim17ROCPRIM_304000_NS6detail20lookback_scan_kernelILNS1_25lookback_scan_determinismE0ELb0ENS1_19wrapped_scan_configINS0_14default_configEiEEPKiPiSt4plusIvEiiNS1_19lookback_scan_stateIiLb0ELb1EEEEEvT2_T3_mT5_T4_T7_jPT6_SK_bb
                                        ; -- End function
	.section	.AMDGPU.csdata,"",@progbits
; Kernel info:
; codeLenInByte = 7488
; NumSgprs: 37
; NumVgprs: 56
; ScratchSize: 0
; MemoryBound: 0
; FloatMode: 240
; IeeeMode: 1
; LDSByteSize: 4224 bytes/workgroup (compile time only)
; SGPRBlocks: 4
; VGPRBlocks: 6
; NumSGPRsForWavesPerEU: 37
; NumVGPRsForWavesPerEU: 56
; Occupancy: 16
; WaveLimiterHint : 1
; COMPUTE_PGM_RSRC2:SCRATCH_EN: 0
; COMPUTE_PGM_RSRC2:USER_SGPR: 15
; COMPUTE_PGM_RSRC2:TRAP_HANDLER: 0
; COMPUTE_PGM_RSRC2:TGID_X_EN: 1
; COMPUTE_PGM_RSRC2:TGID_Y_EN: 0
; COMPUTE_PGM_RSRC2:TGID_Z_EN: 0
; COMPUTE_PGM_RSRC2:TIDIG_COMP_CNT: 0
	.section	.text._ZN7rocprim17ROCPRIM_304000_NS6detail16transform_kernelINS1_24wrapped_transform_configINS0_14default_configEiEEiPiS6_NS0_8identityIiEEEEvT1_mT2_T3_,"axG",@progbits,_ZN7rocprim17ROCPRIM_304000_NS6detail16transform_kernelINS1_24wrapped_transform_configINS0_14default_configEiEEiPiS6_NS0_8identityIiEEEEvT1_mT2_T3_,comdat
	.protected	_ZN7rocprim17ROCPRIM_304000_NS6detail16transform_kernelINS1_24wrapped_transform_configINS0_14default_configEiEEiPiS6_NS0_8identityIiEEEEvT1_mT2_T3_ ; -- Begin function _ZN7rocprim17ROCPRIM_304000_NS6detail16transform_kernelINS1_24wrapped_transform_configINS0_14default_configEiEEiPiS6_NS0_8identityIiEEEEvT1_mT2_T3_
	.globl	_ZN7rocprim17ROCPRIM_304000_NS6detail16transform_kernelINS1_24wrapped_transform_configINS0_14default_configEiEEiPiS6_NS0_8identityIiEEEEvT1_mT2_T3_
	.p2align	8
	.type	_ZN7rocprim17ROCPRIM_304000_NS6detail16transform_kernelINS1_24wrapped_transform_configINS0_14default_configEiEEiPiS6_NS0_8identityIiEEEEvT1_mT2_T3_,@function
_ZN7rocprim17ROCPRIM_304000_NS6detail16transform_kernelINS1_24wrapped_transform_configINS0_14default_configEiEEiPiS6_NS0_8identityIiEEEEvT1_mT2_T3_: ; @_ZN7rocprim17ROCPRIM_304000_NS6detail16transform_kernelINS1_24wrapped_transform_configINS0_14default_configEiEEiPiS6_NS0_8identityIiEEEEvT1_mT2_T3_
; %bb.0:
	s_clause 0x2
	s_load_b32 s2, s[0:1], 0x20
	s_load_b128 s[4:7], s[0:1], 0x0
	s_load_b64 s[16:17], s[0:1], 0x10
	s_mov_b32 s21, 0
	s_lshl_b32 s20, s15, 12
	v_lshlrev_b32_e32 v3, 2, v0
	s_lshl_b64 s[18:19], s[20:21], 2
	s_waitcnt lgkmcnt(0)
	s_add_i32 s2, s2, -1
	s_add_u32 s0, s4, s18
	s_addc_u32 s1, s5, s19
	v_add_co_u32 v1, s0, s0, v3
	s_delay_alu instid0(VALU_DEP_1)
	v_add_co_ci_u32_e64 v2, null, s1, 0, s0
	s_cmp_lg_u32 s15, s2
	s_mov_b32 s0, -1
	s_cbranch_scc0 .LBB4_2
; %bb.1:
	v_add_co_u32 v4, vcc_lo, 0x1000, v1
	v_add_co_ci_u32_e32 v5, vcc_lo, 0, v2, vcc_lo
	v_add_co_u32 v6, vcc_lo, v1, 0x2000
	v_add_co_ci_u32_e32 v7, vcc_lo, 0, v2, vcc_lo
	;; [unrolled: 2-line block ×3, first 2 shown]
	v_add_co_u32 v10, vcc_lo, 0x3000, v1
	global_load_b32 v13, v[6:7], off
	v_add_co_ci_u32_e32 v11, vcc_lo, 0, v2, vcc_lo
	s_clause 0xe
	global_load_b32 v14, v[1:2], off
	global_load_b32 v15, v[1:2], off offset:1024
	global_load_b32 v16, v[1:2], off offset:2048
	;; [unrolled: 1-line block ×9, first 2 shown]
	global_load_b32 v24, v[10:11], off
	global_load_b32 v25, v[10:11], off offset:1024
	global_load_b32 v26, v[6:7], off offset:-4096
	global_load_b32 v27, v[10:11], off offset:2048
	global_load_b32 v4, v[10:11], off offset:3072
	s_add_u32 s2, s16, s18
	s_addc_u32 s3, s17, s19
	v_add_co_u32 v11, s1, s2, v3
	s_delay_alu instid0(VALU_DEP_1) | instskip(NEXT) | instid1(VALU_DEP_2)
	v_add_co_ci_u32_e64 v12, null, s3, 0, s1
	v_add_co_u32 v5, vcc_lo, 0x1000, v11
	s_delay_alu instid0(VALU_DEP_2)
	v_add_co_ci_u32_e32 v6, vcc_lo, 0, v12, vcc_lo
	v_add_co_u32 v7, vcc_lo, v11, 0x2000
	v_add_co_ci_u32_e32 v8, vcc_lo, 0, v12, vcc_lo
	v_add_co_u32 v9, vcc_lo, 0x2000, v11
	;; [unrolled: 2-line block ×3, first 2 shown]
	s_mov_b32 s21, -1
	v_add_co_ci_u32_e32 v12, vcc_lo, 0, v12, vcc_lo
	s_waitcnt vmcnt(15)
	global_store_b32 v[7:8], v13, off
	s_waitcnt vmcnt(14)
	global_store_b32 v3, v14, s[2:3]
	s_waitcnt vmcnt(13)
	global_store_b32 v3, v15, s[2:3] offset:1024
	s_waitcnt vmcnt(12)
	global_store_b32 v3, v16, s[2:3] offset:2048
	;; [unrolled: 2-line block ×3, first 2 shown]
	s_waitcnt vmcnt(10)
	global_store_b32 v[5:6], v18, off offset:1024
	s_waitcnt vmcnt(9)
	global_store_b32 v[5:6], v19, off offset:2048
	;; [unrolled: 2-line block ×6, first 2 shown]
	s_waitcnt vmcnt(4)
	global_store_b32 v[11:12], v24, off
	s_waitcnt vmcnt(3)
	global_store_b32 v[11:12], v25, off offset:1024
	s_waitcnt vmcnt(2)
	global_store_b32 v[7:8], v26, off offset:-4096
	s_waitcnt vmcnt(1)
	global_store_b32 v[11:12], v27, off offset:2048
	s_cbranch_execz .LBB4_3
	s_branch .LBB4_52
.LBB4_2:
                                        ; implicit-def: $vgpr4
	s_and_not1_b32 vcc_lo, exec_lo, s0
	s_cbranch_vccnz .LBB4_52
.LBB4_3:
	s_sub_i32 s15, s6, s20
                                        ; implicit-def: $vgpr5
	s_delay_alu instid0(SALU_CYCLE_1)
	v_cmp_gt_u32_e32 vcc_lo, s15, v0
	s_and_saveexec_b32 s0, vcc_lo
	s_cbranch_execz .LBB4_5
; %bb.4:
	global_load_b32 v5, v[1:2], off
.LBB4_5:
	s_or_b32 exec_lo, exec_lo, s0
	s_waitcnt vmcnt(0)
	v_or_b32_e32 v4, 0x100, v0
                                        ; implicit-def: $vgpr6
	s_delay_alu instid0(VALU_DEP_1) | instskip(NEXT) | instid1(VALU_DEP_1)
	v_cmp_gt_u32_e64 s0, s15, v4
	s_and_saveexec_b32 s1, s0
	s_cbranch_execz .LBB4_7
; %bb.6:
	global_load_b32 v6, v[1:2], off offset:1024
.LBB4_7:
	s_or_b32 exec_lo, exec_lo, s1
	v_or_b32_e32 v4, 0x200, v0
                                        ; implicit-def: $vgpr7
	s_delay_alu instid0(VALU_DEP_1) | instskip(NEXT) | instid1(VALU_DEP_1)
	v_cmp_gt_u32_e64 s1, s15, v4
	s_and_saveexec_b32 s2, s1
	s_cbranch_execz .LBB4_9
; %bb.8:
	global_load_b32 v7, v[1:2], off offset:2048
.LBB4_9:
	s_or_b32 exec_lo, exec_lo, s2
	v_or_b32_e32 v4, 0x300, v0
                                        ; implicit-def: $vgpr8
	s_delay_alu instid0(VALU_DEP_1) | instskip(NEXT) | instid1(VALU_DEP_1)
	v_cmp_gt_u32_e64 s2, s15, v4
	s_and_saveexec_b32 s3, s2
	s_cbranch_execz .LBB4_11
; %bb.10:
	global_load_b32 v8, v[1:2], off offset:3072
.LBB4_11:
	s_or_b32 exec_lo, exec_lo, s3
	v_or_b32_e32 v4, 0x400, v0
                                        ; implicit-def: $vgpr9
	s_delay_alu instid0(VALU_DEP_1) | instskip(NEXT) | instid1(VALU_DEP_1)
	v_cmp_gt_u32_e64 s3, s15, v4
	s_and_saveexec_b32 s5, s3
	s_cbranch_execz .LBB4_13
; %bb.12:
	v_add_co_u32 v9, s4, 0x1000, v1
	s_delay_alu instid0(VALU_DEP_1)
	v_add_co_ci_u32_e64 v10, s4, 0, v2, s4
	global_load_b32 v9, v[9:10], off
.LBB4_13:
	s_or_b32 exec_lo, exec_lo, s5
	v_or_b32_e32 v4, 0x500, v0
                                        ; implicit-def: $vgpr10
	s_delay_alu instid0(VALU_DEP_1) | instskip(NEXT) | instid1(VALU_DEP_1)
	v_cmp_gt_u32_e64 s4, s15, v4
	s_and_saveexec_b32 s6, s4
	s_cbranch_execz .LBB4_15
; %bb.14:
	v_add_co_u32 v10, s5, 0x1000, v1
	s_delay_alu instid0(VALU_DEP_1)
	v_add_co_ci_u32_e64 v11, s5, 0, v2, s5
	global_load_b32 v10, v[10:11], off offset:1024
.LBB4_15:
	s_or_b32 exec_lo, exec_lo, s6
	v_or_b32_e32 v4, 0x600, v0
                                        ; implicit-def: $vgpr11
	s_delay_alu instid0(VALU_DEP_1) | instskip(NEXT) | instid1(VALU_DEP_1)
	v_cmp_gt_u32_e64 s5, s15, v4
	s_and_saveexec_b32 s7, s5
	s_cbranch_execz .LBB4_17
; %bb.16:
	v_add_co_u32 v11, s6, 0x1000, v1
	s_delay_alu instid0(VALU_DEP_1)
	v_add_co_ci_u32_e64 v12, s6, 0, v2, s6
	global_load_b32 v11, v[11:12], off offset:2048
.LBB4_17:
	s_or_b32 exec_lo, exec_lo, s7
	v_or_b32_e32 v4, 0x700, v0
                                        ; implicit-def: $vgpr12
	s_delay_alu instid0(VALU_DEP_1) | instskip(NEXT) | instid1(VALU_DEP_1)
	v_cmp_gt_u32_e64 s6, s15, v4
	s_and_saveexec_b32 s8, s6
	s_cbranch_execz .LBB4_19
; %bb.18:
	v_add_co_u32 v12, s7, 0x1000, v1
	s_delay_alu instid0(VALU_DEP_1)
	v_add_co_ci_u32_e64 v13, s7, 0, v2, s7
	global_load_b32 v12, v[12:13], off offset:3072
.LBB4_19:
	s_or_b32 exec_lo, exec_lo, s8
	v_or_b32_e32 v4, 0x800, v0
                                        ; implicit-def: $vgpr13
	s_delay_alu instid0(VALU_DEP_1) | instskip(NEXT) | instid1(VALU_DEP_1)
	v_cmp_gt_u32_e64 s7, s15, v4
	s_and_saveexec_b32 s9, s7
	s_cbranch_execz .LBB4_21
; %bb.20:
	v_add_co_u32 v13, s8, 0x2000, v1
	s_delay_alu instid0(VALU_DEP_1)
	v_add_co_ci_u32_e64 v14, s8, 0, v2, s8
	global_load_b32 v13, v[13:14], off
.LBB4_21:
	s_or_b32 exec_lo, exec_lo, s9
	v_or_b32_e32 v4, 0x900, v0
                                        ; implicit-def: $vgpr14
	s_delay_alu instid0(VALU_DEP_1) | instskip(NEXT) | instid1(VALU_DEP_1)
	v_cmp_gt_u32_e64 s8, s15, v4
	s_and_saveexec_b32 s10, s8
	s_cbranch_execz .LBB4_23
; %bb.22:
	v_add_co_u32 v14, s9, 0x2000, v1
	s_delay_alu instid0(VALU_DEP_1)
	v_add_co_ci_u32_e64 v15, s9, 0, v2, s9
	global_load_b32 v14, v[14:15], off offset:1024
.LBB4_23:
	s_or_b32 exec_lo, exec_lo, s10
	v_or_b32_e32 v4, 0xa00, v0
                                        ; implicit-def: $vgpr15
	s_delay_alu instid0(VALU_DEP_1) | instskip(NEXT) | instid1(VALU_DEP_1)
	v_cmp_gt_u32_e64 s9, s15, v4
	s_and_saveexec_b32 s11, s9
	s_cbranch_execz .LBB4_25
; %bb.24:
	v_add_co_u32 v15, s10, 0x2000, v1
	s_delay_alu instid0(VALU_DEP_1)
	v_add_co_ci_u32_e64 v16, s10, 0, v2, s10
	global_load_b32 v15, v[15:16], off offset:2048
.LBB4_25:
	s_or_b32 exec_lo, exec_lo, s11
	v_or_b32_e32 v4, 0xb00, v0
                                        ; implicit-def: $vgpr16
	s_delay_alu instid0(VALU_DEP_1) | instskip(NEXT) | instid1(VALU_DEP_1)
	v_cmp_gt_u32_e64 s10, s15, v4
	s_and_saveexec_b32 s12, s10
	s_cbranch_execz .LBB4_27
; %bb.26:
	v_add_co_u32 v16, s11, 0x2000, v1
	s_delay_alu instid0(VALU_DEP_1)
	v_add_co_ci_u32_e64 v17, s11, 0, v2, s11
	global_load_b32 v16, v[16:17], off offset:3072
.LBB4_27:
	s_or_b32 exec_lo, exec_lo, s12
	v_or_b32_e32 v4, 0xc00, v0
                                        ; implicit-def: $vgpr17
	s_delay_alu instid0(VALU_DEP_1) | instskip(NEXT) | instid1(VALU_DEP_1)
	v_cmp_gt_u32_e64 s11, s15, v4
	s_and_saveexec_b32 s13, s11
	s_cbranch_execz .LBB4_29
; %bb.28:
	v_add_co_u32 v17, s12, 0x3000, v1
	s_delay_alu instid0(VALU_DEP_1)
	v_add_co_ci_u32_e64 v18, s12, 0, v2, s12
	global_load_b32 v17, v[17:18], off
.LBB4_29:
	s_or_b32 exec_lo, exec_lo, s13
	v_or_b32_e32 v4, 0xd00, v0
                                        ; implicit-def: $vgpr18
	s_delay_alu instid0(VALU_DEP_1) | instskip(NEXT) | instid1(VALU_DEP_1)
	v_cmp_gt_u32_e64 s12, s15, v4
	s_and_saveexec_b32 s14, s12
	s_cbranch_execz .LBB4_31
; %bb.30:
	v_add_co_u32 v18, s13, 0x3000, v1
	s_delay_alu instid0(VALU_DEP_1)
	v_add_co_ci_u32_e64 v19, s13, 0, v2, s13
	global_load_b32 v18, v[18:19], off offset:1024
.LBB4_31:
	s_or_b32 exec_lo, exec_lo, s14
	v_or_b32_e32 v4, 0xe00, v0
                                        ; implicit-def: $vgpr19
	s_delay_alu instid0(VALU_DEP_1) | instskip(NEXT) | instid1(VALU_DEP_1)
	v_cmp_gt_u32_e64 s13, s15, v4
	s_and_saveexec_b32 s20, s13
	s_cbranch_execz .LBB4_33
; %bb.32:
	v_add_co_u32 v19, s14, 0x3000, v1
	s_delay_alu instid0(VALU_DEP_1)
	v_add_co_ci_u32_e64 v20, s14, 0, v2, s14
	global_load_b32 v19, v[19:20], off offset:2048
.LBB4_33:
	s_or_b32 exec_lo, exec_lo, s20
	v_or_b32_e32 v0, 0xf00, v0
                                        ; implicit-def: $vgpr4
	s_delay_alu instid0(VALU_DEP_1) | instskip(NEXT) | instid1(VALU_DEP_1)
	v_cmp_gt_u32_e64 s21, s15, v0
	s_and_saveexec_b32 s15, s21
	s_cbranch_execz .LBB4_35
; %bb.34:
	v_add_co_u32 v0, s14, 0x3000, v1
	s_delay_alu instid0(VALU_DEP_1)
	v_add_co_ci_u32_e64 v1, s14, 0, v2, s14
	global_load_b32 v4, v[0:1], off offset:3072
.LBB4_35:
	s_or_b32 exec_lo, exec_lo, s15
	s_add_u32 s14, s16, s18
	s_addc_u32 s15, s17, s19
	v_add_co_u32 v0, s14, s14, v3
	s_delay_alu instid0(VALU_DEP_1) | instskip(SKIP_1) | instid1(SALU_CYCLE_1)
	v_add_co_ci_u32_e64 v1, null, s15, 0, s14
	s_and_saveexec_b32 s14, vcc_lo
	s_xor_b32 s14, exec_lo, s14
	s_cbranch_execnz .LBB4_55
; %bb.36:
	s_or_b32 exec_lo, exec_lo, s14
	s_and_saveexec_b32 s14, s0
	s_cbranch_execnz .LBB4_56
.LBB4_37:
	s_or_b32 exec_lo, exec_lo, s14
	s_and_saveexec_b32 s0, s1
	s_cbranch_execnz .LBB4_57
.LBB4_38:
	s_or_b32 exec_lo, exec_lo, s0
	s_and_saveexec_b32 s0, s2
	s_cbranch_execnz .LBB4_58
.LBB4_39:
	s_or_b32 exec_lo, exec_lo, s0
	s_and_saveexec_b32 s0, s3
	s_cbranch_execnz .LBB4_59
.LBB4_40:
	s_or_b32 exec_lo, exec_lo, s0
	s_and_saveexec_b32 s0, s4
	s_cbranch_execnz .LBB4_60
.LBB4_41:
	s_or_b32 exec_lo, exec_lo, s0
	s_and_saveexec_b32 s0, s5
	s_cbranch_execnz .LBB4_61
.LBB4_42:
	s_or_b32 exec_lo, exec_lo, s0
	s_and_saveexec_b32 s0, s6
	s_cbranch_execnz .LBB4_62
.LBB4_43:
	s_or_b32 exec_lo, exec_lo, s0
	s_and_saveexec_b32 s0, s7
	s_cbranch_execnz .LBB4_63
.LBB4_44:
	s_or_b32 exec_lo, exec_lo, s0
	s_and_saveexec_b32 s0, s8
	s_cbranch_execnz .LBB4_64
.LBB4_45:
	s_or_b32 exec_lo, exec_lo, s0
	s_and_saveexec_b32 s0, s9
	s_cbranch_execnz .LBB4_65
.LBB4_46:
	s_or_b32 exec_lo, exec_lo, s0
	s_and_saveexec_b32 s0, s10
	s_cbranch_execnz .LBB4_66
.LBB4_47:
	s_or_b32 exec_lo, exec_lo, s0
	s_and_saveexec_b32 s0, s11
	s_cbranch_execnz .LBB4_67
.LBB4_48:
	s_or_b32 exec_lo, exec_lo, s0
	s_and_saveexec_b32 s0, s12
	s_cbranch_execnz .LBB4_68
.LBB4_49:
	s_or_b32 exec_lo, exec_lo, s0
	s_and_saveexec_b32 s0, s13
	s_cbranch_execz .LBB4_51
.LBB4_50:
	v_add_co_u32 v0, vcc_lo, 0x3000, v0
	v_add_co_ci_u32_e32 v1, vcc_lo, 0, v1, vcc_lo
	s_waitcnt vmcnt(0)
	global_store_b32 v[0:1], v19, off offset:2048
.LBB4_51:
	s_or_b32 exec_lo, exec_lo, s0
.LBB4_52:
	s_and_saveexec_b32 s0, s21
	s_cbranch_execnz .LBB4_54
; %bb.53:
	s_nop 0
	s_sendmsg sendmsg(MSG_DEALLOC_VGPRS)
	s_endpgm
.LBB4_54:
	s_add_u32 s0, s16, s18
	s_addc_u32 s1, s17, s19
	v_add_co_u32 v0, s0, s0, v3
	s_delay_alu instid0(VALU_DEP_1) | instskip(NEXT) | instid1(VALU_DEP_2)
	v_add_co_ci_u32_e64 v1, null, s1, 0, s0
	v_add_co_u32 v0, vcc_lo, 0x3000, v0
	s_delay_alu instid0(VALU_DEP_2)
	v_add_co_ci_u32_e32 v1, vcc_lo, 0, v1, vcc_lo
	s_waitcnt vmcnt(0)
	global_store_b32 v[0:1], v4, off offset:3072
	s_nop 0
	s_sendmsg sendmsg(MSG_DEALLOC_VGPRS)
	s_endpgm
.LBB4_55:
	global_store_b32 v[0:1], v5, off
	s_or_b32 exec_lo, exec_lo, s14
	s_and_saveexec_b32 s14, s0
	s_cbranch_execz .LBB4_37
.LBB4_56:
	s_waitcnt vmcnt(0)
	global_store_b32 v[0:1], v6, off offset:1024
	s_or_b32 exec_lo, exec_lo, s14
	s_and_saveexec_b32 s0, s1
	s_cbranch_execz .LBB4_38
.LBB4_57:
	s_waitcnt vmcnt(0)
	global_store_b32 v[0:1], v7, off offset:2048
	s_or_b32 exec_lo, exec_lo, s0
	s_and_saveexec_b32 s0, s2
	s_cbranch_execz .LBB4_39
.LBB4_58:
	s_waitcnt vmcnt(0)
	global_store_b32 v[0:1], v8, off offset:3072
	s_or_b32 exec_lo, exec_lo, s0
	s_and_saveexec_b32 s0, s3
	s_cbranch_execz .LBB4_40
.LBB4_59:
	v_add_co_u32 v5, vcc_lo, 0x1000, v0
	s_waitcnt vmcnt(0)
	v_add_co_ci_u32_e32 v6, vcc_lo, 0, v1, vcc_lo
	global_store_b32 v[5:6], v9, off
	s_or_b32 exec_lo, exec_lo, s0
	s_and_saveexec_b32 s0, s4
	s_cbranch_execz .LBB4_41
.LBB4_60:
	v_add_co_u32 v5, vcc_lo, 0x1000, v0
	s_waitcnt vmcnt(0)
	v_add_co_ci_u32_e32 v6, vcc_lo, 0, v1, vcc_lo
	global_store_b32 v[5:6], v10, off offset:1024
	s_or_b32 exec_lo, exec_lo, s0
	s_and_saveexec_b32 s0, s5
	s_cbranch_execz .LBB4_42
.LBB4_61:
	v_add_co_u32 v5, vcc_lo, 0x1000, v0
	s_waitcnt vmcnt(0)
	v_add_co_ci_u32_e32 v6, vcc_lo, 0, v1, vcc_lo
	global_store_b32 v[5:6], v11, off offset:2048
	s_or_b32 exec_lo, exec_lo, s0
	s_and_saveexec_b32 s0, s6
	s_cbranch_execz .LBB4_43
.LBB4_62:
	v_add_co_u32 v5, vcc_lo, 0x1000, v0
	s_waitcnt vmcnt(0)
	v_add_co_ci_u32_e32 v6, vcc_lo, 0, v1, vcc_lo
	global_store_b32 v[5:6], v12, off offset:3072
	s_or_b32 exec_lo, exec_lo, s0
	s_and_saveexec_b32 s0, s7
	s_cbranch_execz .LBB4_44
.LBB4_63:
	v_add_co_u32 v5, vcc_lo, 0x2000, v0
	s_waitcnt vmcnt(0)
	v_add_co_ci_u32_e32 v6, vcc_lo, 0, v1, vcc_lo
	global_store_b32 v[5:6], v13, off
	s_or_b32 exec_lo, exec_lo, s0
	s_and_saveexec_b32 s0, s8
	s_cbranch_execz .LBB4_45
.LBB4_64:
	v_add_co_u32 v5, vcc_lo, 0x2000, v0
	s_waitcnt vmcnt(0)
	v_add_co_ci_u32_e32 v6, vcc_lo, 0, v1, vcc_lo
	global_store_b32 v[5:6], v14, off offset:1024
	s_or_b32 exec_lo, exec_lo, s0
	s_and_saveexec_b32 s0, s9
	s_cbranch_execz .LBB4_46
.LBB4_65:
	v_add_co_u32 v5, vcc_lo, 0x2000, v0
	s_waitcnt vmcnt(0)
	v_add_co_ci_u32_e32 v6, vcc_lo, 0, v1, vcc_lo
	global_store_b32 v[5:6], v15, off offset:2048
	s_or_b32 exec_lo, exec_lo, s0
	s_and_saveexec_b32 s0, s10
	s_cbranch_execz .LBB4_47
.LBB4_66:
	v_add_co_u32 v5, vcc_lo, 0x2000, v0
	s_waitcnt vmcnt(0)
	v_add_co_ci_u32_e32 v6, vcc_lo, 0, v1, vcc_lo
	global_store_b32 v[5:6], v16, off offset:3072
	s_or_b32 exec_lo, exec_lo, s0
	s_and_saveexec_b32 s0, s11
	s_cbranch_execz .LBB4_48
.LBB4_67:
	v_add_co_u32 v5, vcc_lo, 0x3000, v0
	s_waitcnt vmcnt(0)
	v_add_co_ci_u32_e32 v6, vcc_lo, 0, v1, vcc_lo
	global_store_b32 v[5:6], v17, off
	s_or_b32 exec_lo, exec_lo, s0
	s_and_saveexec_b32 s0, s12
	s_cbranch_execz .LBB4_49
.LBB4_68:
	v_add_co_u32 v5, vcc_lo, 0x3000, v0
	s_waitcnt vmcnt(0)
	v_add_co_ci_u32_e32 v6, vcc_lo, 0, v1, vcc_lo
	global_store_b32 v[5:6], v18, off offset:1024
	s_or_b32 exec_lo, exec_lo, s0
	s_and_saveexec_b32 s0, s13
	s_cbranch_execnz .LBB4_50
	s_branch .LBB4_51
	.section	.rodata,"a",@progbits
	.p2align	6, 0x0
	.amdhsa_kernel _ZN7rocprim17ROCPRIM_304000_NS6detail16transform_kernelINS1_24wrapped_transform_configINS0_14default_configEiEEiPiS6_NS0_8identityIiEEEEvT1_mT2_T3_
		.amdhsa_group_segment_fixed_size 0
		.amdhsa_private_segment_fixed_size 0
		.amdhsa_kernarg_size 288
		.amdhsa_user_sgpr_count 15
		.amdhsa_user_sgpr_dispatch_ptr 0
		.amdhsa_user_sgpr_queue_ptr 0
		.amdhsa_user_sgpr_kernarg_segment_ptr 1
		.amdhsa_user_sgpr_dispatch_id 0
		.amdhsa_user_sgpr_private_segment_size 0
		.amdhsa_wavefront_size32 1
		.amdhsa_uses_dynamic_stack 0
		.amdhsa_enable_private_segment 0
		.amdhsa_system_sgpr_workgroup_id_x 1
		.amdhsa_system_sgpr_workgroup_id_y 0
		.amdhsa_system_sgpr_workgroup_id_z 0
		.amdhsa_system_sgpr_workgroup_info 0
		.amdhsa_system_vgpr_workitem_id 0
		.amdhsa_next_free_vgpr 28
		.amdhsa_next_free_sgpr 22
		.amdhsa_reserve_vcc 1
		.amdhsa_float_round_mode_32 0
		.amdhsa_float_round_mode_16_64 0
		.amdhsa_float_denorm_mode_32 3
		.amdhsa_float_denorm_mode_16_64 3
		.amdhsa_dx10_clamp 1
		.amdhsa_ieee_mode 1
		.amdhsa_fp16_overflow 0
		.amdhsa_workgroup_processor_mode 1
		.amdhsa_memory_ordered 1
		.amdhsa_forward_progress 0
		.amdhsa_shared_vgpr_count 0
		.amdhsa_exception_fp_ieee_invalid_op 0
		.amdhsa_exception_fp_denorm_src 0
		.amdhsa_exception_fp_ieee_div_zero 0
		.amdhsa_exception_fp_ieee_overflow 0
		.amdhsa_exception_fp_ieee_underflow 0
		.amdhsa_exception_fp_ieee_inexact 0
		.amdhsa_exception_int_div_zero 0
	.end_amdhsa_kernel
	.section	.text._ZN7rocprim17ROCPRIM_304000_NS6detail16transform_kernelINS1_24wrapped_transform_configINS0_14default_configEiEEiPiS6_NS0_8identityIiEEEEvT1_mT2_T3_,"axG",@progbits,_ZN7rocprim17ROCPRIM_304000_NS6detail16transform_kernelINS1_24wrapped_transform_configINS0_14default_configEiEEiPiS6_NS0_8identityIiEEEEvT1_mT2_T3_,comdat
.Lfunc_end4:
	.size	_ZN7rocprim17ROCPRIM_304000_NS6detail16transform_kernelINS1_24wrapped_transform_configINS0_14default_configEiEEiPiS6_NS0_8identityIiEEEEvT1_mT2_T3_, .Lfunc_end4-_ZN7rocprim17ROCPRIM_304000_NS6detail16transform_kernelINS1_24wrapped_transform_configINS0_14default_configEiEEiPiS6_NS0_8identityIiEEEEvT1_mT2_T3_
                                        ; -- End function
	.section	.AMDGPU.csdata,"",@progbits
; Kernel info:
; codeLenInByte = 2336
; NumSgprs: 24
; NumVgprs: 28
; ScratchSize: 0
; MemoryBound: 0
; FloatMode: 240
; IeeeMode: 1
; LDSByteSize: 0 bytes/workgroup (compile time only)
; SGPRBlocks: 2
; VGPRBlocks: 3
; NumSGPRsForWavesPerEU: 24
; NumVGPRsForWavesPerEU: 28
; Occupancy: 16
; WaveLimiterHint : 1
; COMPUTE_PGM_RSRC2:SCRATCH_EN: 0
; COMPUTE_PGM_RSRC2:USER_SGPR: 15
; COMPUTE_PGM_RSRC2:TRAP_HANDLER: 0
; COMPUTE_PGM_RSRC2:TGID_X_EN: 1
; COMPUTE_PGM_RSRC2:TGID_Y_EN: 0
; COMPUTE_PGM_RSRC2:TGID_Z_EN: 0
; COMPUTE_PGM_RSRC2:TIDIG_COMP_CNT: 0
	.section	.text._ZN7rocprim17ROCPRIM_304000_NS6detail18single_scan_kernelILb0ENS1_19wrapped_scan_configINS0_14default_configEiEEPKiPiSt4plusIvEiiEEvT1_mT4_T2_T3_,"axG",@progbits,_ZN7rocprim17ROCPRIM_304000_NS6detail18single_scan_kernelILb0ENS1_19wrapped_scan_configINS0_14default_configEiEEPKiPiSt4plusIvEiiEEvT1_mT4_T2_T3_,comdat
	.protected	_ZN7rocprim17ROCPRIM_304000_NS6detail18single_scan_kernelILb0ENS1_19wrapped_scan_configINS0_14default_configEiEEPKiPiSt4plusIvEiiEEvT1_mT4_T2_T3_ ; -- Begin function _ZN7rocprim17ROCPRIM_304000_NS6detail18single_scan_kernelILb0ENS1_19wrapped_scan_configINS0_14default_configEiEEPKiPiSt4plusIvEiiEEvT1_mT4_T2_T3_
	.globl	_ZN7rocprim17ROCPRIM_304000_NS6detail18single_scan_kernelILb0ENS1_19wrapped_scan_configINS0_14default_configEiEEPKiPiSt4plusIvEiiEEvT1_mT4_T2_T3_
	.p2align	8
	.type	_ZN7rocprim17ROCPRIM_304000_NS6detail18single_scan_kernelILb0ENS1_19wrapped_scan_configINS0_14default_configEiEEPKiPiSt4plusIvEiiEEvT1_mT4_T2_T3_,@function
_ZN7rocprim17ROCPRIM_304000_NS6detail18single_scan_kernelILb0ENS1_19wrapped_scan_configINS0_14default_configEiEEPKiPiSt4plusIvEiiEEvT1_mT4_T2_T3_: ; @_ZN7rocprim17ROCPRIM_304000_NS6detail18single_scan_kernelILb0ENS1_19wrapped_scan_configINS0_14default_configEiEEPKiPiSt4plusIvEiiEEvT1_mT4_T2_T3_
; %bb.0:
	s_load_b128 s[20:23], s[0:1], 0x0
	s_waitcnt lgkmcnt(0)
	s_load_b32 s4, s[20:21], 0x0
	v_cmp_gt_u32_e32 vcc_lo, s22, v0
	s_waitcnt lgkmcnt(0)
	s_mov_b32 s5, s4
	s_mov_b32 s6, s4
	;; [unrolled: 1-line block ×15, first 2 shown]
	v_lshlrev_b32_e32 v19, 2, v0
	v_dual_mov_b32 v1, s4 :: v_dual_mov_b32 v4, s7
	v_dual_mov_b32 v2, s5 :: v_dual_mov_b32 v3, s6
	v_mov_b32_e32 v6, s9
	s_delay_alu instid0(VALU_DEP_4) | instskip(NEXT) | instid1(VALU_DEP_1)
	v_add_co_u32 v17, s2, s20, v19
	v_add_co_ci_u32_e64 v18, null, s21, 0, s2
	v_dual_mov_b32 v5, s8 :: v_dual_mov_b32 v8, s11
	v_dual_mov_b32 v7, s10 :: v_dual_mov_b32 v10, s13
	;; [unrolled: 1-line block ×6, first 2 shown]
	s_and_saveexec_b32 s2, vcc_lo
	s_cbranch_execz .LBB5_2
; %bb.1:
	global_load_b32 v20, v[17:18], off
	v_dual_mov_b32 v1, s4 :: v_dual_mov_b32 v2, s5
	v_dual_mov_b32 v3, s6 :: v_dual_mov_b32 v4, s7
	;; [unrolled: 1-line block ×8, first 2 shown]
                                        ; kill: def $vgpr1 killed $vgpr20 killed $exec
.LBB5_2:
	s_or_b32 exec_lo, exec_lo, s2
	v_or_b32_e32 v1, 64, v0
	s_delay_alu instid0(VALU_DEP_1) | instskip(NEXT) | instid1(VALU_DEP_1)
	v_cmp_gt_u32_e64 s2, s22, v1
	s_and_saveexec_b32 s3, s2
	s_cbranch_execz .LBB5_4
; %bb.3:
	global_load_b32 v2, v[17:18], off offset:256
.LBB5_4:
	s_or_b32 exec_lo, exec_lo, s3
	v_or_b32_e32 v21, 0x80, v0
	s_delay_alu instid0(VALU_DEP_1) | instskip(NEXT) | instid1(VALU_DEP_1)
	v_cmp_gt_u32_e64 s3, s22, v21
	s_and_saveexec_b32 s4, s3
	s_cbranch_execz .LBB5_6
; %bb.5:
	global_load_b32 v3, v[17:18], off offset:512
.LBB5_6:
	;; [unrolled: 9-line block ×15, first 2 shown]
	s_or_b32 exec_lo, exec_lo, s17
	v_lshrrev_b32_e32 v17, 3, v0
	v_lshrrev_b32_e32 v1, 3, v1
	v_lshrrev_b32_e32 v18, 3, v21
	v_lshrrev_b32_e32 v21, 3, v22
	v_lshrrev_b32_e32 v22, 3, v23
	v_and_b32_e32 v17, 4, v17
	v_and_b32_e32 v1, 12, v1
	v_lshrrev_b32_e32 v23, 3, v24
	v_and_b32_e32 v24, 28, v18
	v_and_b32_e32 v22, 60, v22
	v_add_nc_u32_e32 v17, v17, v19
	v_add_nc_u32_e32 v18, v1, v19
	v_and_b32_e32 v1, 28, v21
	v_add_nc_u32_e32 v21, v24, v19
	v_add_nc_u32_e32 v22, v22, v19
	s_waitcnt vmcnt(0)
	ds_store_b32 v17, v20
	ds_store_b32 v18, v2 offset:256
	v_and_b32_e32 v2, 60, v23
	v_add_nc_u32_e32 v20, v1, v19
	v_lshrrev_b32_e32 v1, 3, v25
	ds_store_b32 v21, v3 offset:512
	v_lshrrev_b32_e32 v3, 3, v27
	v_add_nc_u32_e32 v23, v2, v19
	v_lshrrev_b32_e32 v2, 3, v26
	v_and_b32_e32 v1, 60, v1
	ds_store_b32 v20, v4 offset:768
	ds_store_b32 v22, v5 offset:1024
	v_and_b32_e32 v3, 0x7c, v3
	v_lshrrev_b32_e32 v4, 3, v28
	ds_store_b32 v23, v6 offset:1280
	v_add_nc_u32_e32 v24, v1, v19
	v_and_b32_e32 v1, 60, v2
	v_lshrrev_b32_e32 v2, 3, v29
	v_add_nc_u32_e32 v26, v3, v19
	v_lshrrev_b32_e32 v3, 3, v32
	v_and_b32_e32 v4, 0x7c, v4
	v_add_nc_u32_e32 v25, v1, v19
	v_and_b32_e32 v1, 0x7c, v2
	v_lshrrev_b32_e32 v2, 3, v30
	v_and_b32_e32 v3, 0x7c, v3
	v_add_nc_u32_e32 v27, v4, v19
	v_lshrrev_b32_e32 v4, 3, v33
	v_add_nc_u32_e32 v28, v1, v19
	v_and_b32_e32 v1, 0x7c, v2
	v_lshrrev_b32_e32 v2, 3, v31
	v_add_nc_u32_e32 v31, v3, v19
	v_lshrrev_b32_e32 v3, 1, v0
	v_and_b32_e32 v4, 0x7c, v4
	v_add_nc_u32_e32 v29, v1, v19
	v_and_b32_e32 v1, 0x7c, v2
	v_lshrrev_b32_e32 v2, 3, v34
	ds_store_b32 v24, v7 offset:1536
	v_add_nc_u32_e32 v32, v4, v19
	ds_store_b32 v25, v8 offset:1792
	v_add_nc_u32_e32 v30, v1, v19
	v_and_b32_e32 v1, 0x7c, v2
	v_lshlrev_b32_e32 v2, 4, v0
	ds_store_b32 v26, v9 offset:2048
	ds_store_b32 v27, v10 offset:2304
	ds_store_b32 v28, v11 offset:2560
	ds_store_b32 v29, v12 offset:2816
	v_add_nc_u32_e32 v33, v1, v19
	v_add_lshl_u32 v34, v3, v2, 2
	ds_store_b32 v30, v13 offset:3072
	ds_store_b32 v31, v14 offset:3328
	;; [unrolled: 1-line block ×3, first 2 shown]
	s_mov_b32 s18, exec_lo
	ds_store_b32 v33, v16 offset:3840
	s_waitcnt lgkmcnt(0)
	s_barrier
	buffer_gl0_inv
	ds_load_2addr_b32 v[9:10], v34 offset1:1
	ds_load_2addr_b32 v[7:8], v34 offset0:2 offset1:3
	ds_load_2addr_b32 v[3:4], v34 offset0:4 offset1:5
	ds_load_2addr_b32 v[1:2], v34 offset0:6 offset1:7
	ds_load_2addr_b32 v[11:12], v34 offset0:8 offset1:9
	ds_load_2addr_b32 v[13:14], v34 offset0:10 offset1:11
	s_waitcnt lgkmcnt(5)
	v_add_nc_u32_e32 v5, v10, v9
	s_waitcnt lgkmcnt(4)
	s_delay_alu instid0(VALU_DEP_1) | instskip(SKIP_1) | instid1(VALU_DEP_1)
	v_add3_u32 v5, v5, v7, v8
	s_waitcnt lgkmcnt(3)
	v_add3_u32 v35, v5, v3, v4
	ds_load_2addr_b32 v[15:16], v34 offset0:12 offset1:13
	ds_load_2addr_b32 v[5:6], v34 offset0:14 offset1:15
	s_waitcnt lgkmcnt(0)
	s_barrier
	buffer_gl0_inv
	v_add3_u32 v35, v35, v1, v2
	s_delay_alu instid0(VALU_DEP_1) | instskip(NEXT) | instid1(VALU_DEP_1)
	v_add3_u32 v35, v35, v11, v12
	v_add3_u32 v35, v35, v13, v14
	s_delay_alu instid0(VALU_DEP_1) | instskip(NEXT) | instid1(VALU_DEP_1)
	v_add3_u32 v35, v35, v15, v16
	v_add3_u32 v35, v35, v5, v6
	ds_store_b32 v17, v35
	s_waitcnt lgkmcnt(0)
	s_barrier
	buffer_gl0_inv
	v_cmpx_gt_u32_e32 32, v0
	s_cbranch_execz .LBB5_34
; %bb.33:
	v_lshrrev_b32_e32 v36, 2, v0
	v_mbcnt_lo_u32_b32 v39, -1, 0
	s_delay_alu instid0(VALU_DEP_2) | instskip(NEXT) | instid1(VALU_DEP_2)
	v_and_b32_e32 v36, 12, v36
	v_and_b32_e32 v41, 15, v39
	v_add_nc_u32_e32 v43, -1, v39
	s_delay_alu instid0(VALU_DEP_3) | instskip(NEXT) | instid1(VALU_DEP_3)
	v_lshl_or_b32 v38, v0, 3, v36
	v_cmp_ne_u32_e64 s17, 0, v41
	ds_load_2addr_b32 v[36:37], v38 offset1:1
	s_waitcnt lgkmcnt(0)
	v_add_nc_u32_e32 v40, v37, v36
	s_delay_alu instid0(VALU_DEP_1) | instskip(NEXT) | instid1(VALU_DEP_1)
	v_mov_b32_dpp v42, v40 row_shr:1 row_mask:0xf bank_mask:0xf
	v_cndmask_b32_e64 v42, 0, v42, s17
	v_cmp_lt_u32_e64 s17, 1, v41
	s_delay_alu instid0(VALU_DEP_2) | instskip(NEXT) | instid1(VALU_DEP_1)
	v_add_nc_u32_e32 v40, v42, v40
	v_mov_b32_dpp v42, v40 row_shr:2 row_mask:0xf bank_mask:0xf
	s_delay_alu instid0(VALU_DEP_1) | instskip(SKIP_1) | instid1(VALU_DEP_2)
	v_cndmask_b32_e64 v42, 0, v42, s17
	v_cmp_lt_u32_e64 s17, 3, v41
	v_add_nc_u32_e32 v40, v40, v42
	s_delay_alu instid0(VALU_DEP_1) | instskip(NEXT) | instid1(VALU_DEP_1)
	v_mov_b32_dpp v42, v40 row_shr:4 row_mask:0xf bank_mask:0xf
	v_cndmask_b32_e64 v42, 0, v42, s17
	v_cmp_lt_u32_e64 s17, 7, v41
	s_delay_alu instid0(VALU_DEP_2) | instskip(NEXT) | instid1(VALU_DEP_1)
	v_add_nc_u32_e32 v40, v40, v42
	v_mov_b32_dpp v42, v40 row_shr:8 row_mask:0xf bank_mask:0xf
	s_delay_alu instid0(VALU_DEP_1) | instskip(SKIP_2) | instid1(VALU_DEP_3)
	v_cndmask_b32_e64 v41, 0, v42, s17
	v_bfe_i32 v42, v39, 4, 1
	v_cmp_gt_i32_e64 s17, 0, v43
	v_add_nc_u32_e32 v40, v40, v41
	s_delay_alu instid0(VALU_DEP_2)
	v_cndmask_b32_e64 v39, v43, v39, s17
	v_cmp_eq_u32_e64 s17, 0, v0
	ds_swizzle_b32 v41, v40 offset:swizzle(BROADCAST,32,15)
	v_lshlrev_b32_e32 v39, 2, v39
	s_waitcnt lgkmcnt(0)
	v_and_b32_e32 v41, v42, v41
	s_delay_alu instid0(VALU_DEP_1) | instskip(SKIP_3) | instid1(VALU_DEP_1)
	v_add_nc_u32_e32 v40, v40, v41
	ds_bpermute_b32 v39, v39, v40
	s_waitcnt lgkmcnt(0)
	v_add_nc_u32_e32 v36, v39, v36
	v_cndmask_b32_e64 v35, v36, v35, s17
	s_delay_alu instid0(VALU_DEP_1)
	v_add_nc_u32_e32 v36, v35, v37
	ds_store_2addr_b32 v38, v35, v36 offset1:1
.LBB5_34:
	s_or_b32 exec_lo, exec_lo, s18
	v_mov_b32_e32 v35, 0
	s_mov_b32 s18, exec_lo
	s_waitcnt lgkmcnt(0)
	s_barrier
	buffer_gl0_inv
	v_cmpx_ne_u32_e32 0, v0
	s_cbranch_execz .LBB5_36
; %bb.35:
	v_add_nc_u32_e32 v0, -1, v0
	s_delay_alu instid0(VALU_DEP_1) | instskip(NEXT) | instid1(VALU_DEP_1)
	v_lshrrev_b32_e32 v35, 5, v0
	v_add_lshl_u32 v0, v35, v0, 2
	ds_load_b32 v35, v0
.LBB5_36:
	s_or_b32 exec_lo, exec_lo, s18
	s_waitcnt lgkmcnt(0)
	v_add_nc_u32_e32 v0, v35, v9
	s_barrier
	buffer_gl0_inv
	s_load_b64 s[0:1], s[0:1], 0x18
	v_add_nc_u32_e32 v9, v0, v10
	s_delay_alu instid0(VALU_DEP_1) | instskip(NEXT) | instid1(VALU_DEP_1)
	v_add_nc_u32_e32 v7, v9, v7
	v_add_nc_u32_e32 v8, v7, v8
	s_delay_alu instid0(VALU_DEP_1) | instskip(NEXT) | instid1(VALU_DEP_1)
	v_add_nc_u32_e32 v3, v8, v3
	;; [unrolled: 3-line block ×7, first 2 shown]
	v_add_nc_u32_e32 v6, v5, v6
	ds_store_2addr_b32 v34, v0, v9 offset1:1
	ds_store_2addr_b32 v34, v7, v8 offset0:2 offset1:3
	ds_store_2addr_b32 v34, v3, v4 offset0:4 offset1:5
	;; [unrolled: 1-line block ×7, first 2 shown]
	s_waitcnt lgkmcnt(0)
	s_barrier
	buffer_gl0_inv
	ds_load_b32 v16, v18 offset:256
	ds_load_b32 v15, v21 offset:512
	;; [unrolled: 1-line block ×15, first 2 shown]
	v_add_co_u32 v0, s0, s0, v19
	s_delay_alu instid0(VALU_DEP_1)
	v_add_co_ci_u32_e64 v1, null, s1, 0, s0
	s_and_saveexec_b32 s0, vcc_lo
	s_cbranch_execnz .LBB5_53
; %bb.37:
	s_or_b32 exec_lo, exec_lo, s0
	s_and_saveexec_b32 s0, s2
	s_cbranch_execnz .LBB5_54
.LBB5_38:
	s_or_b32 exec_lo, exec_lo, s0
	s_and_saveexec_b32 s0, s3
	s_cbranch_execnz .LBB5_55
.LBB5_39:
	s_or_b32 exec_lo, exec_lo, s0
	s_and_saveexec_b32 s0, s4
	s_cbranch_execnz .LBB5_56
.LBB5_40:
	s_or_b32 exec_lo, exec_lo, s0
	s_and_saveexec_b32 s0, s5
	s_cbranch_execnz .LBB5_57
.LBB5_41:
	s_or_b32 exec_lo, exec_lo, s0
	s_and_saveexec_b32 s0, s6
	s_cbranch_execnz .LBB5_58
.LBB5_42:
	s_or_b32 exec_lo, exec_lo, s0
	s_and_saveexec_b32 s0, s7
	s_cbranch_execnz .LBB5_59
.LBB5_43:
	s_or_b32 exec_lo, exec_lo, s0
	s_and_saveexec_b32 s0, s8
	s_cbranch_execnz .LBB5_60
.LBB5_44:
	s_or_b32 exec_lo, exec_lo, s0
	s_and_saveexec_b32 s0, s9
	s_cbranch_execnz .LBB5_61
.LBB5_45:
	s_or_b32 exec_lo, exec_lo, s0
	s_and_saveexec_b32 s0, s10
	s_cbranch_execnz .LBB5_62
.LBB5_46:
	s_or_b32 exec_lo, exec_lo, s0
	s_and_saveexec_b32 s0, s11
	s_cbranch_execnz .LBB5_63
.LBB5_47:
	s_or_b32 exec_lo, exec_lo, s0
	s_and_saveexec_b32 s0, s12
	s_cbranch_execnz .LBB5_64
.LBB5_48:
	s_or_b32 exec_lo, exec_lo, s0
	s_and_saveexec_b32 s0, s13
	s_cbranch_execnz .LBB5_65
.LBB5_49:
	s_or_b32 exec_lo, exec_lo, s0
	s_and_saveexec_b32 s0, s14
	s_cbranch_execnz .LBB5_66
.LBB5_50:
	s_or_b32 exec_lo, exec_lo, s0
	s_and_saveexec_b32 s0, s15
	s_cbranch_execnz .LBB5_67
.LBB5_51:
	s_or_b32 exec_lo, exec_lo, s0
	s_and_saveexec_b32 s0, s16
	s_cbranch_execnz .LBB5_68
.LBB5_52:
	s_nop 0
	s_sendmsg sendmsg(MSG_DEALLOC_VGPRS)
	s_endpgm
.LBB5_53:
	ds_load_b32 v17, v17
	s_waitcnt lgkmcnt(0)
	global_store_b32 v[0:1], v17, off
	s_or_b32 exec_lo, exec_lo, s0
	s_and_saveexec_b32 s0, s2
	s_cbranch_execz .LBB5_38
.LBB5_54:
	s_waitcnt lgkmcnt(14)
	global_store_b32 v[0:1], v16, off offset:256
	s_or_b32 exec_lo, exec_lo, s0
	s_and_saveexec_b32 s0, s3
	s_cbranch_execz .LBB5_39
.LBB5_55:
	s_waitcnt lgkmcnt(13)
	global_store_b32 v[0:1], v15, off offset:512
	s_or_b32 exec_lo, exec_lo, s0
	s_and_saveexec_b32 s0, s4
	s_cbranch_execz .LBB5_40
.LBB5_56:
	s_waitcnt lgkmcnt(12)
	global_store_b32 v[0:1], v14, off offset:768
	s_or_b32 exec_lo, exec_lo, s0
	s_and_saveexec_b32 s0, s5
	s_cbranch_execz .LBB5_41
.LBB5_57:
	s_waitcnt lgkmcnt(11)
	global_store_b32 v[0:1], v13, off offset:1024
	s_or_b32 exec_lo, exec_lo, s0
	s_and_saveexec_b32 s0, s6
	s_cbranch_execz .LBB5_42
.LBB5_58:
	s_waitcnt lgkmcnt(10)
	global_store_b32 v[0:1], v12, off offset:1280
	s_or_b32 exec_lo, exec_lo, s0
	s_and_saveexec_b32 s0, s7
	s_cbranch_execz .LBB5_43
.LBB5_59:
	s_waitcnt lgkmcnt(9)
	global_store_b32 v[0:1], v11, off offset:1536
	s_or_b32 exec_lo, exec_lo, s0
	s_and_saveexec_b32 s0, s8
	s_cbranch_execz .LBB5_44
.LBB5_60:
	s_waitcnt lgkmcnt(8)
	global_store_b32 v[0:1], v10, off offset:1792
	s_or_b32 exec_lo, exec_lo, s0
	s_and_saveexec_b32 s0, s9
	s_cbranch_execz .LBB5_45
.LBB5_61:
	s_waitcnt lgkmcnt(7)
	global_store_b32 v[0:1], v9, off offset:2048
	s_or_b32 exec_lo, exec_lo, s0
	s_and_saveexec_b32 s0, s10
	s_cbranch_execz .LBB5_46
.LBB5_62:
	s_waitcnt lgkmcnt(6)
	global_store_b32 v[0:1], v8, off offset:2304
	s_or_b32 exec_lo, exec_lo, s0
	s_and_saveexec_b32 s0, s11
	s_cbranch_execz .LBB5_47
.LBB5_63:
	s_waitcnt lgkmcnt(5)
	global_store_b32 v[0:1], v7, off offset:2560
	s_or_b32 exec_lo, exec_lo, s0
	s_and_saveexec_b32 s0, s12
	s_cbranch_execz .LBB5_48
.LBB5_64:
	s_waitcnt lgkmcnt(4)
	global_store_b32 v[0:1], v6, off offset:2816
	s_or_b32 exec_lo, exec_lo, s0
	s_and_saveexec_b32 s0, s13
	s_cbranch_execz .LBB5_49
.LBB5_65:
	s_waitcnt lgkmcnt(3)
	global_store_b32 v[0:1], v5, off offset:3072
	s_or_b32 exec_lo, exec_lo, s0
	s_and_saveexec_b32 s0, s14
	s_cbranch_execz .LBB5_50
.LBB5_66:
	s_waitcnt lgkmcnt(2)
	global_store_b32 v[0:1], v4, off offset:3328
	s_or_b32 exec_lo, exec_lo, s0
	s_and_saveexec_b32 s0, s15
	s_cbranch_execz .LBB5_51
.LBB5_67:
	s_waitcnt lgkmcnt(1)
	global_store_b32 v[0:1], v3, off offset:3584
	s_or_b32 exec_lo, exec_lo, s0
	s_and_saveexec_b32 s0, s16
	s_cbranch_execz .LBB5_52
.LBB5_68:
	s_waitcnt lgkmcnt(0)
	global_store_b32 v[0:1], v2, off offset:3840
	s_nop 0
	s_sendmsg sendmsg(MSG_DEALLOC_VGPRS)
	s_endpgm
	.section	.rodata,"a",@progbits
	.p2align	6, 0x0
	.amdhsa_kernel _ZN7rocprim17ROCPRIM_304000_NS6detail18single_scan_kernelILb0ENS1_19wrapped_scan_configINS0_14default_configEiEEPKiPiSt4plusIvEiiEEvT1_mT4_T2_T3_
		.amdhsa_group_segment_fixed_size 4224
		.amdhsa_private_segment_fixed_size 0
		.amdhsa_kernarg_size 36
		.amdhsa_user_sgpr_count 15
		.amdhsa_user_sgpr_dispatch_ptr 0
		.amdhsa_user_sgpr_queue_ptr 0
		.amdhsa_user_sgpr_kernarg_segment_ptr 1
		.amdhsa_user_sgpr_dispatch_id 0
		.amdhsa_user_sgpr_private_segment_size 0
		.amdhsa_wavefront_size32 1
		.amdhsa_uses_dynamic_stack 0
		.amdhsa_enable_private_segment 0
		.amdhsa_system_sgpr_workgroup_id_x 1
		.amdhsa_system_sgpr_workgroup_id_y 0
		.amdhsa_system_sgpr_workgroup_id_z 0
		.amdhsa_system_sgpr_workgroup_info 0
		.amdhsa_system_vgpr_workitem_id 0
		.amdhsa_next_free_vgpr 44
		.amdhsa_next_free_sgpr 24
		.amdhsa_reserve_vcc 1
		.amdhsa_float_round_mode_32 0
		.amdhsa_float_round_mode_16_64 0
		.amdhsa_float_denorm_mode_32 3
		.amdhsa_float_denorm_mode_16_64 3
		.amdhsa_dx10_clamp 1
		.amdhsa_ieee_mode 1
		.amdhsa_fp16_overflow 0
		.amdhsa_workgroup_processor_mode 1
		.amdhsa_memory_ordered 1
		.amdhsa_forward_progress 0
		.amdhsa_shared_vgpr_count 0
		.amdhsa_exception_fp_ieee_invalid_op 0
		.amdhsa_exception_fp_denorm_src 0
		.amdhsa_exception_fp_ieee_div_zero 0
		.amdhsa_exception_fp_ieee_overflow 0
		.amdhsa_exception_fp_ieee_underflow 0
		.amdhsa_exception_fp_ieee_inexact 0
		.amdhsa_exception_int_div_zero 0
	.end_amdhsa_kernel
	.section	.text._ZN7rocprim17ROCPRIM_304000_NS6detail18single_scan_kernelILb0ENS1_19wrapped_scan_configINS0_14default_configEiEEPKiPiSt4plusIvEiiEEvT1_mT4_T2_T3_,"axG",@progbits,_ZN7rocprim17ROCPRIM_304000_NS6detail18single_scan_kernelILb0ENS1_19wrapped_scan_configINS0_14default_configEiEEPKiPiSt4plusIvEiiEEvT1_mT4_T2_T3_,comdat
.Lfunc_end5:
	.size	_ZN7rocprim17ROCPRIM_304000_NS6detail18single_scan_kernelILb0ENS1_19wrapped_scan_configINS0_14default_configEiEEPKiPiSt4plusIvEiiEEvT1_mT4_T2_T3_, .Lfunc_end5-_ZN7rocprim17ROCPRIM_304000_NS6detail18single_scan_kernelILb0ENS1_19wrapped_scan_configINS0_14default_configEiEEPKiPiSt4plusIvEiiEEvT1_mT4_T2_T3_
                                        ; -- End function
	.section	.AMDGPU.csdata,"",@progbits
; Kernel info:
; codeLenInByte = 2740
; NumSgprs: 26
; NumVgprs: 44
; ScratchSize: 0
; MemoryBound: 0
; FloatMode: 240
; IeeeMode: 1
; LDSByteSize: 4224 bytes/workgroup (compile time only)
; SGPRBlocks: 3
; VGPRBlocks: 5
; NumSGPRsForWavesPerEU: 26
; NumVGPRsForWavesPerEU: 44
; Occupancy: 16
; WaveLimiterHint : 0
; COMPUTE_PGM_RSRC2:SCRATCH_EN: 0
; COMPUTE_PGM_RSRC2:USER_SGPR: 15
; COMPUTE_PGM_RSRC2:TRAP_HANDLER: 0
; COMPUTE_PGM_RSRC2:TGID_X_EN: 1
; COMPUTE_PGM_RSRC2:TGID_Y_EN: 0
; COMPUTE_PGM_RSRC2:TGID_Z_EN: 0
; COMPUTE_PGM_RSRC2:TIDIG_COMP_CNT: 0
	.section	.text._ZN7rocprim17ROCPRIM_304000_NS6detail31init_lookback_scan_state_kernelINS1_19lookback_scan_stateIlLb1ELb1EEEEEvT_jjPNS5_10value_typeE,"axG",@progbits,_ZN7rocprim17ROCPRIM_304000_NS6detail31init_lookback_scan_state_kernelINS1_19lookback_scan_stateIlLb1ELb1EEEEEvT_jjPNS5_10value_typeE,comdat
	.protected	_ZN7rocprim17ROCPRIM_304000_NS6detail31init_lookback_scan_state_kernelINS1_19lookback_scan_stateIlLb1ELb1EEEEEvT_jjPNS5_10value_typeE ; -- Begin function _ZN7rocprim17ROCPRIM_304000_NS6detail31init_lookback_scan_state_kernelINS1_19lookback_scan_stateIlLb1ELb1EEEEEvT_jjPNS5_10value_typeE
	.globl	_ZN7rocprim17ROCPRIM_304000_NS6detail31init_lookback_scan_state_kernelINS1_19lookback_scan_stateIlLb1ELb1EEEEEvT_jjPNS5_10value_typeE
	.p2align	8
	.type	_ZN7rocprim17ROCPRIM_304000_NS6detail31init_lookback_scan_state_kernelINS1_19lookback_scan_stateIlLb1ELb1EEEEEvT_jjPNS5_10value_typeE,@function
_ZN7rocprim17ROCPRIM_304000_NS6detail31init_lookback_scan_state_kernelINS1_19lookback_scan_stateIlLb1ELb1EEEEEvT_jjPNS5_10value_typeE: ; @_ZN7rocprim17ROCPRIM_304000_NS6detail31init_lookback_scan_state_kernelINS1_19lookback_scan_stateIlLb1ELb1EEEEEvT_jjPNS5_10value_typeE
; %bb.0:
	s_clause 0x2
	s_load_b32 s6, s[0:1], 0x24
	s_load_b64 s[4:5], s[0:1], 0x10
	s_load_b128 s[0:3], s[0:1], 0x0
	s_waitcnt lgkmcnt(0)
	s_and_b32 s6, s6, 0xffff
	s_cmp_eq_u64 s[4:5], 0
	v_mad_u64_u32 v[1:2], null, s15, s6, v[0:1]
	s_cbranch_scc1 .LBB6_10
; %bb.1:
	s_cmp_lt_u32 s3, s2
	s_mov_b32 s7, 0
	s_cselect_b32 s6, s3, 0
	s_mov_b32 s8, exec_lo
	s_delay_alu instid0(VALU_DEP_1)
	v_cmpx_eq_u32_e64 s6, v1
	s_cbranch_execz .LBB6_9
; %bb.2:
	s_add_i32 s6, s3, 32
	s_mov_b32 s3, exec_lo
	s_lshl_b64 s[6:7], s[6:7], 4
	v_mov_b32_e32 v6, 0
	s_add_u32 s6, s0, s6
	s_addc_u32 s7, s1, s7
	s_delay_alu instid0(SALU_CYCLE_1) | instskip(SKIP_2) | instid1(VALU_DEP_1)
	v_dual_mov_b32 v2, s6 :: v_dual_mov_b32 v3, s7
	;;#ASMSTART
	global_load_dwordx4 v[2:5], v[2:3] off glc	
s_waitcnt vmcnt(0)
	;;#ASMEND
	v_and_b32_e32 v5, 0xff, v4
	v_cmpx_eq_u64_e32 0, v[5:6]
	s_cbranch_execz .LBB6_8
; %bb.3:
	v_dual_mov_b32 v8, s7 :: v_dual_mov_b32 v7, s6
	s_mov_b32 s7, 1
	s_mov_b32 s6, 0
	.p2align	6
.LBB6_4:                                ; =>This Loop Header: Depth=1
                                        ;     Child Loop BB6_5 Depth 2
	s_max_u32 s9, s7, 1
.LBB6_5:                                ;   Parent Loop BB6_4 Depth=1
                                        ; =>  This Inner Loop Header: Depth=2
	s_delay_alu instid0(SALU_CYCLE_1)
	s_add_i32 s9, s9, -1
	s_sleep 1
	s_cmp_eq_u32 s9, 0
	s_cbranch_scc0 .LBB6_5
; %bb.6:                                ;   in Loop: Header=BB6_4 Depth=1
	;;#ASMSTART
	global_load_dwordx4 v[2:5], v[7:8] off glc	
s_waitcnt vmcnt(0)
	;;#ASMEND
	v_and_b32_e32 v5, 0xff, v4
	s_cmp_lt_u32 s7, 32
	s_cselect_b32 s9, -1, 0
	s_delay_alu instid0(SALU_CYCLE_1) | instskip(NEXT) | instid1(VALU_DEP_1)
	s_cmp_lg_u32 s9, 0
	v_cmp_ne_u64_e32 vcc_lo, 0, v[5:6]
	s_addc_u32 s7, s7, 0
	s_or_b32 s6, vcc_lo, s6
	s_delay_alu instid0(SALU_CYCLE_1)
	s_and_not1_b32 exec_lo, exec_lo, s6
	s_cbranch_execnz .LBB6_4
; %bb.7:
	s_or_b32 exec_lo, exec_lo, s6
.LBB6_8:
	s_delay_alu instid0(SALU_CYCLE_1)
	s_or_b32 exec_lo, exec_lo, s3
	v_mov_b32_e32 v0, 0
	global_store_b64 v0, v[2:3], s[4:5]
.LBB6_9:
	s_or_b32 exec_lo, exec_lo, s8
.LBB6_10:
	s_delay_alu instid0(VALU_DEP_1)
	v_cmp_gt_u32_e32 vcc_lo, s2, v1
	s_and_saveexec_b32 s2, vcc_lo
	s_cbranch_execz .LBB6_12
; %bb.11:
	v_dual_mov_b32 v3, 0 :: v_dual_add_nc_u32 v2, 32, v1
	s_delay_alu instid0(VALU_DEP_1) | instskip(SKIP_2) | instid1(VALU_DEP_3)
	v_lshlrev_b64 v[5:6], 4, v[2:3]
	v_mov_b32_e32 v2, v3
	v_mov_b32_e32 v4, v3
	v_add_co_u32 v7, vcc_lo, s0, v5
	s_delay_alu instid0(VALU_DEP_4)
	v_add_co_ci_u32_e32 v8, vcc_lo, s1, v6, vcc_lo
	v_mov_b32_e32 v5, v3
	global_store_b128 v[7:8], v[2:5], off
.LBB6_12:
	s_or_b32 exec_lo, exec_lo, s2
	s_delay_alu instid0(SALU_CYCLE_1)
	s_mov_b32 s2, exec_lo
	v_cmpx_gt_u32_e32 32, v1
	s_cbranch_execz .LBB6_14
; %bb.13:
	v_dual_mov_b32 v2, 0 :: v_dual_mov_b32 v3, 0xff
	s_delay_alu instid0(VALU_DEP_1) | instskip(SKIP_1) | instid1(VALU_DEP_2)
	v_lshlrev_b64 v[4:5], 4, v[1:2]
	v_mov_b32_e32 v1, v2
	v_add_co_u32 v6, vcc_lo, s0, v4
	s_delay_alu instid0(VALU_DEP_3)
	v_add_co_ci_u32_e32 v7, vcc_lo, s1, v5, vcc_lo
	v_mov_b32_e32 v4, v2
	global_store_b128 v[6:7], v[1:4], off
.LBB6_14:
	s_nop 0
	s_sendmsg sendmsg(MSG_DEALLOC_VGPRS)
	s_endpgm
	.section	.rodata,"a",@progbits
	.p2align	6, 0x0
	.amdhsa_kernel _ZN7rocprim17ROCPRIM_304000_NS6detail31init_lookback_scan_state_kernelINS1_19lookback_scan_stateIlLb1ELb1EEEEEvT_jjPNS5_10value_typeE
		.amdhsa_group_segment_fixed_size 0
		.amdhsa_private_segment_fixed_size 0
		.amdhsa_kernarg_size 280
		.amdhsa_user_sgpr_count 15
		.amdhsa_user_sgpr_dispatch_ptr 0
		.amdhsa_user_sgpr_queue_ptr 0
		.amdhsa_user_sgpr_kernarg_segment_ptr 1
		.amdhsa_user_sgpr_dispatch_id 0
		.amdhsa_user_sgpr_private_segment_size 0
		.amdhsa_wavefront_size32 1
		.amdhsa_uses_dynamic_stack 0
		.amdhsa_enable_private_segment 0
		.amdhsa_system_sgpr_workgroup_id_x 1
		.amdhsa_system_sgpr_workgroup_id_y 0
		.amdhsa_system_sgpr_workgroup_id_z 0
		.amdhsa_system_sgpr_workgroup_info 0
		.amdhsa_system_vgpr_workitem_id 0
		.amdhsa_next_free_vgpr 9
		.amdhsa_next_free_sgpr 16
		.amdhsa_reserve_vcc 1
		.amdhsa_float_round_mode_32 0
		.amdhsa_float_round_mode_16_64 0
		.amdhsa_float_denorm_mode_32 3
		.amdhsa_float_denorm_mode_16_64 3
		.amdhsa_dx10_clamp 1
		.amdhsa_ieee_mode 1
		.amdhsa_fp16_overflow 0
		.amdhsa_workgroup_processor_mode 1
		.amdhsa_memory_ordered 1
		.amdhsa_forward_progress 0
		.amdhsa_shared_vgpr_count 0
		.amdhsa_exception_fp_ieee_invalid_op 0
		.amdhsa_exception_fp_denorm_src 0
		.amdhsa_exception_fp_ieee_div_zero 0
		.amdhsa_exception_fp_ieee_overflow 0
		.amdhsa_exception_fp_ieee_underflow 0
		.amdhsa_exception_fp_ieee_inexact 0
		.amdhsa_exception_int_div_zero 0
	.end_amdhsa_kernel
	.section	.text._ZN7rocprim17ROCPRIM_304000_NS6detail31init_lookback_scan_state_kernelINS1_19lookback_scan_stateIlLb1ELb1EEEEEvT_jjPNS5_10value_typeE,"axG",@progbits,_ZN7rocprim17ROCPRIM_304000_NS6detail31init_lookback_scan_state_kernelINS1_19lookback_scan_stateIlLb1ELb1EEEEEvT_jjPNS5_10value_typeE,comdat
.Lfunc_end6:
	.size	_ZN7rocprim17ROCPRIM_304000_NS6detail31init_lookback_scan_state_kernelINS1_19lookback_scan_stateIlLb1ELb1EEEEEvT_jjPNS5_10value_typeE, .Lfunc_end6-_ZN7rocprim17ROCPRIM_304000_NS6detail31init_lookback_scan_state_kernelINS1_19lookback_scan_stateIlLb1ELb1EEEEEvT_jjPNS5_10value_typeE
                                        ; -- End function
	.section	.AMDGPU.csdata,"",@progbits
; Kernel info:
; codeLenInByte = 496
; NumSgprs: 18
; NumVgprs: 9
; ScratchSize: 0
; MemoryBound: 0
; FloatMode: 240
; IeeeMode: 1
; LDSByteSize: 0 bytes/workgroup (compile time only)
; SGPRBlocks: 2
; VGPRBlocks: 1
; NumSGPRsForWavesPerEU: 18
; NumVGPRsForWavesPerEU: 9
; Occupancy: 16
; WaveLimiterHint : 0
; COMPUTE_PGM_RSRC2:SCRATCH_EN: 0
; COMPUTE_PGM_RSRC2:USER_SGPR: 15
; COMPUTE_PGM_RSRC2:TRAP_HANDLER: 0
; COMPUTE_PGM_RSRC2:TGID_X_EN: 1
; COMPUTE_PGM_RSRC2:TGID_Y_EN: 0
; COMPUTE_PGM_RSRC2:TGID_Z_EN: 0
; COMPUTE_PGM_RSRC2:TIDIG_COMP_CNT: 0
	.section	.text._ZN7rocprim17ROCPRIM_304000_NS6detail31init_lookback_scan_state_kernelINS1_19lookback_scan_stateIlLb0ELb1EEEEEvT_jjPNS5_10value_typeE,"axG",@progbits,_ZN7rocprim17ROCPRIM_304000_NS6detail31init_lookback_scan_state_kernelINS1_19lookback_scan_stateIlLb0ELb1EEEEEvT_jjPNS5_10value_typeE,comdat
	.protected	_ZN7rocprim17ROCPRIM_304000_NS6detail31init_lookback_scan_state_kernelINS1_19lookback_scan_stateIlLb0ELb1EEEEEvT_jjPNS5_10value_typeE ; -- Begin function _ZN7rocprim17ROCPRIM_304000_NS6detail31init_lookback_scan_state_kernelINS1_19lookback_scan_stateIlLb0ELb1EEEEEvT_jjPNS5_10value_typeE
	.globl	_ZN7rocprim17ROCPRIM_304000_NS6detail31init_lookback_scan_state_kernelINS1_19lookback_scan_stateIlLb0ELb1EEEEEvT_jjPNS5_10value_typeE
	.p2align	8
	.type	_ZN7rocprim17ROCPRIM_304000_NS6detail31init_lookback_scan_state_kernelINS1_19lookback_scan_stateIlLb0ELb1EEEEEvT_jjPNS5_10value_typeE,@function
_ZN7rocprim17ROCPRIM_304000_NS6detail31init_lookback_scan_state_kernelINS1_19lookback_scan_stateIlLb0ELb1EEEEEvT_jjPNS5_10value_typeE: ; @_ZN7rocprim17ROCPRIM_304000_NS6detail31init_lookback_scan_state_kernelINS1_19lookback_scan_stateIlLb0ELb1EEEEEvT_jjPNS5_10value_typeE
; %bb.0:
	s_clause 0x2
	s_load_b32 s6, s[0:1], 0x24
	s_load_b64 s[4:5], s[0:1], 0x10
	s_load_b128 s[0:3], s[0:1], 0x0
	s_waitcnt lgkmcnt(0)
	s_and_b32 s6, s6, 0xffff
	s_cmp_eq_u64 s[4:5], 0
	v_mad_u64_u32 v[1:2], null, s15, s6, v[0:1]
	s_cbranch_scc1 .LBB7_8
; %bb.1:
	s_cmp_lt_u32 s3, s2
	s_mov_b32 s7, 0
	s_cselect_b32 s6, s3, 0
	s_mov_b32 s8, exec_lo
	s_delay_alu instid0(VALU_DEP_1)
	v_cmpx_eq_u32_e64 s6, v1
	s_cbranch_execz .LBB7_7
; %bb.2:
	s_add_i32 s6, s3, 32
	s_mov_b32 s3, exec_lo
	s_lshl_b64 s[6:7], s[6:7], 4
	v_mov_b32_e32 v6, 0
	s_add_u32 s6, s0, s6
	s_addc_u32 s7, s1, s7
	s_delay_alu instid0(SALU_CYCLE_1) | instskip(SKIP_2) | instid1(VALU_DEP_1)
	v_dual_mov_b32 v2, s6 :: v_dual_mov_b32 v3, s7
	;;#ASMSTART
	global_load_dwordx4 v[2:5], v[2:3] off glc	
s_waitcnt vmcnt(0)
	;;#ASMEND
	v_and_b32_e32 v5, 0xff, v4
	v_cmpx_eq_u64_e32 0, v[5:6]
	s_cbranch_execz .LBB7_6
; %bb.3:
	v_dual_mov_b32 v8, s7 :: v_dual_mov_b32 v7, s6
	s_mov_b32 s6, 0
.LBB7_4:                                ; =>This Inner Loop Header: Depth=1
	;;#ASMSTART
	global_load_dwordx4 v[2:5], v[7:8] off glc	
s_waitcnt vmcnt(0)
	;;#ASMEND
	v_and_b32_e32 v5, 0xff, v4
	s_delay_alu instid0(VALU_DEP_1) | instskip(SKIP_1) | instid1(SALU_CYCLE_1)
	v_cmp_ne_u64_e32 vcc_lo, 0, v[5:6]
	s_or_b32 s6, vcc_lo, s6
	s_and_not1_b32 exec_lo, exec_lo, s6
	s_cbranch_execnz .LBB7_4
; %bb.5:
	s_or_b32 exec_lo, exec_lo, s6
.LBB7_6:
	s_delay_alu instid0(SALU_CYCLE_1)
	s_or_b32 exec_lo, exec_lo, s3
	v_mov_b32_e32 v0, 0
	global_store_b64 v0, v[2:3], s[4:5]
.LBB7_7:
	s_or_b32 exec_lo, exec_lo, s8
.LBB7_8:
	s_delay_alu instid0(VALU_DEP_1)
	v_cmp_gt_u32_e32 vcc_lo, s2, v1
	s_and_saveexec_b32 s2, vcc_lo
	s_cbranch_execz .LBB7_10
; %bb.9:
	v_dual_mov_b32 v3, 0 :: v_dual_add_nc_u32 v2, 32, v1
	s_delay_alu instid0(VALU_DEP_1) | instskip(SKIP_2) | instid1(VALU_DEP_3)
	v_lshlrev_b64 v[5:6], 4, v[2:3]
	v_mov_b32_e32 v2, v3
	v_mov_b32_e32 v4, v3
	v_add_co_u32 v7, vcc_lo, s0, v5
	s_delay_alu instid0(VALU_DEP_4)
	v_add_co_ci_u32_e32 v8, vcc_lo, s1, v6, vcc_lo
	v_mov_b32_e32 v5, v3
	global_store_b128 v[7:8], v[2:5], off
.LBB7_10:
	s_or_b32 exec_lo, exec_lo, s2
	s_delay_alu instid0(SALU_CYCLE_1)
	s_mov_b32 s2, exec_lo
	v_cmpx_gt_u32_e32 32, v1
	s_cbranch_execz .LBB7_12
; %bb.11:
	v_dual_mov_b32 v2, 0 :: v_dual_mov_b32 v3, 0xff
	s_delay_alu instid0(VALU_DEP_1) | instskip(SKIP_1) | instid1(VALU_DEP_2)
	v_lshlrev_b64 v[4:5], 4, v[1:2]
	v_mov_b32_e32 v1, v2
	v_add_co_u32 v6, vcc_lo, s0, v4
	s_delay_alu instid0(VALU_DEP_3)
	v_add_co_ci_u32_e32 v7, vcc_lo, s1, v5, vcc_lo
	v_mov_b32_e32 v4, v2
	global_store_b128 v[6:7], v[1:4], off
.LBB7_12:
	s_nop 0
	s_sendmsg sendmsg(MSG_DEALLOC_VGPRS)
	s_endpgm
	.section	.rodata,"a",@progbits
	.p2align	6, 0x0
	.amdhsa_kernel _ZN7rocprim17ROCPRIM_304000_NS6detail31init_lookback_scan_state_kernelINS1_19lookback_scan_stateIlLb0ELb1EEEEEvT_jjPNS5_10value_typeE
		.amdhsa_group_segment_fixed_size 0
		.amdhsa_private_segment_fixed_size 0
		.amdhsa_kernarg_size 280
		.amdhsa_user_sgpr_count 15
		.amdhsa_user_sgpr_dispatch_ptr 0
		.amdhsa_user_sgpr_queue_ptr 0
		.amdhsa_user_sgpr_kernarg_segment_ptr 1
		.amdhsa_user_sgpr_dispatch_id 0
		.amdhsa_user_sgpr_private_segment_size 0
		.amdhsa_wavefront_size32 1
		.amdhsa_uses_dynamic_stack 0
		.amdhsa_enable_private_segment 0
		.amdhsa_system_sgpr_workgroup_id_x 1
		.amdhsa_system_sgpr_workgroup_id_y 0
		.amdhsa_system_sgpr_workgroup_id_z 0
		.amdhsa_system_sgpr_workgroup_info 0
		.amdhsa_system_vgpr_workitem_id 0
		.amdhsa_next_free_vgpr 9
		.amdhsa_next_free_sgpr 16
		.amdhsa_reserve_vcc 1
		.amdhsa_float_round_mode_32 0
		.amdhsa_float_round_mode_16_64 0
		.amdhsa_float_denorm_mode_32 3
		.amdhsa_float_denorm_mode_16_64 3
		.amdhsa_dx10_clamp 1
		.amdhsa_ieee_mode 1
		.amdhsa_fp16_overflow 0
		.amdhsa_workgroup_processor_mode 1
		.amdhsa_memory_ordered 1
		.amdhsa_forward_progress 0
		.amdhsa_shared_vgpr_count 0
		.amdhsa_exception_fp_ieee_invalid_op 0
		.amdhsa_exception_fp_denorm_src 0
		.amdhsa_exception_fp_ieee_div_zero 0
		.amdhsa_exception_fp_ieee_overflow 0
		.amdhsa_exception_fp_ieee_underflow 0
		.amdhsa_exception_fp_ieee_inexact 0
		.amdhsa_exception_int_div_zero 0
	.end_amdhsa_kernel
	.section	.text._ZN7rocprim17ROCPRIM_304000_NS6detail31init_lookback_scan_state_kernelINS1_19lookback_scan_stateIlLb0ELb1EEEEEvT_jjPNS5_10value_typeE,"axG",@progbits,_ZN7rocprim17ROCPRIM_304000_NS6detail31init_lookback_scan_state_kernelINS1_19lookback_scan_stateIlLb0ELb1EEEEEvT_jjPNS5_10value_typeE,comdat
.Lfunc_end7:
	.size	_ZN7rocprim17ROCPRIM_304000_NS6detail31init_lookback_scan_state_kernelINS1_19lookback_scan_stateIlLb0ELb1EEEEEvT_jjPNS5_10value_typeE, .Lfunc_end7-_ZN7rocprim17ROCPRIM_304000_NS6detail31init_lookback_scan_state_kernelINS1_19lookback_scan_stateIlLb0ELb1EEEEEvT_jjPNS5_10value_typeE
                                        ; -- End function
	.section	.AMDGPU.csdata,"",@progbits
; Kernel info:
; codeLenInByte = 448
; NumSgprs: 18
; NumVgprs: 9
; ScratchSize: 0
; MemoryBound: 0
; FloatMode: 240
; IeeeMode: 1
; LDSByteSize: 0 bytes/workgroup (compile time only)
; SGPRBlocks: 2
; VGPRBlocks: 1
; NumSGPRsForWavesPerEU: 18
; NumVGPRsForWavesPerEU: 9
; Occupancy: 16
; WaveLimiterHint : 0
; COMPUTE_PGM_RSRC2:SCRATCH_EN: 0
; COMPUTE_PGM_RSRC2:USER_SGPR: 15
; COMPUTE_PGM_RSRC2:TRAP_HANDLER: 0
; COMPUTE_PGM_RSRC2:TGID_X_EN: 1
; COMPUTE_PGM_RSRC2:TGID_Y_EN: 0
; COMPUTE_PGM_RSRC2:TGID_Z_EN: 0
; COMPUTE_PGM_RSRC2:TIDIG_COMP_CNT: 0
	.section	.text._ZN7rocprim17ROCPRIM_304000_NS6detail20lookback_scan_kernelILNS1_25lookback_scan_determinismE0ELb0ENS1_19wrapped_scan_configINS0_14default_configElEEPKlPlSt4plusIvEllNS1_19lookback_scan_stateIlLb1ELb1EEEEEvT2_T3_mT5_T4_T7_jPT6_SK_bb,"axG",@progbits,_ZN7rocprim17ROCPRIM_304000_NS6detail20lookback_scan_kernelILNS1_25lookback_scan_determinismE0ELb0ENS1_19wrapped_scan_configINS0_14default_configElEEPKlPlSt4plusIvEllNS1_19lookback_scan_stateIlLb1ELb1EEEEEvT2_T3_mT5_T4_T7_jPT6_SK_bb,comdat
	.protected	_ZN7rocprim17ROCPRIM_304000_NS6detail20lookback_scan_kernelILNS1_25lookback_scan_determinismE0ELb0ENS1_19wrapped_scan_configINS0_14default_configElEEPKlPlSt4plusIvEllNS1_19lookback_scan_stateIlLb1ELb1EEEEEvT2_T3_mT5_T4_T7_jPT6_SK_bb ; -- Begin function _ZN7rocprim17ROCPRIM_304000_NS6detail20lookback_scan_kernelILNS1_25lookback_scan_determinismE0ELb0ENS1_19wrapped_scan_configINS0_14default_configElEEPKlPlSt4plusIvEllNS1_19lookback_scan_stateIlLb1ELb1EEEEEvT2_T3_mT5_T4_T7_jPT6_SK_bb
	.globl	_ZN7rocprim17ROCPRIM_304000_NS6detail20lookback_scan_kernelILNS1_25lookback_scan_determinismE0ELb0ENS1_19wrapped_scan_configINS0_14default_configElEEPKlPlSt4plusIvEllNS1_19lookback_scan_stateIlLb1ELb1EEEEEvT2_T3_mT5_T4_T7_jPT6_SK_bb
	.p2align	8
	.type	_ZN7rocprim17ROCPRIM_304000_NS6detail20lookback_scan_kernelILNS1_25lookback_scan_determinismE0ELb0ENS1_19wrapped_scan_configINS0_14default_configElEEPKlPlSt4plusIvEllNS1_19lookback_scan_stateIlLb1ELb1EEEEEvT2_T3_mT5_T4_T7_jPT6_SK_bb,@function
_ZN7rocprim17ROCPRIM_304000_NS6detail20lookback_scan_kernelILNS1_25lookback_scan_determinismE0ELb0ENS1_19wrapped_scan_configINS0_14default_configElEEPKlPlSt4plusIvEllNS1_19lookback_scan_stateIlLb1ELb1EEEEEvT2_T3_mT5_T4_T7_jPT6_SK_bb: ; @_ZN7rocprim17ROCPRIM_304000_NS6detail20lookback_scan_kernelILNS1_25lookback_scan_determinismE0ELb0ENS1_19wrapped_scan_configINS0_14default_configElEEPKlPlSt4plusIvEllNS1_19lookback_scan_stateIlLb1ELb1EEEEEvT2_T3_mT5_T4_T7_jPT6_SK_bb
; %bb.0:
	s_endpgm
	.section	.rodata,"a",@progbits
	.p2align	6, 0x0
	.amdhsa_kernel _ZN7rocprim17ROCPRIM_304000_NS6detail20lookback_scan_kernelILNS1_25lookback_scan_determinismE0ELb0ENS1_19wrapped_scan_configINS0_14default_configElEEPKlPlSt4plusIvEllNS1_19lookback_scan_stateIlLb1ELb1EEEEEvT2_T3_mT5_T4_T7_jPT6_SK_bb
		.amdhsa_group_segment_fixed_size 0
		.amdhsa_private_segment_fixed_size 0
		.amdhsa_kernarg_size 76
		.amdhsa_user_sgpr_count 15
		.amdhsa_user_sgpr_dispatch_ptr 0
		.amdhsa_user_sgpr_queue_ptr 0
		.amdhsa_user_sgpr_kernarg_segment_ptr 1
		.amdhsa_user_sgpr_dispatch_id 0
		.amdhsa_user_sgpr_private_segment_size 0
		.amdhsa_wavefront_size32 1
		.amdhsa_uses_dynamic_stack 0
		.amdhsa_enable_private_segment 0
		.amdhsa_system_sgpr_workgroup_id_x 1
		.amdhsa_system_sgpr_workgroup_id_y 0
		.amdhsa_system_sgpr_workgroup_id_z 0
		.amdhsa_system_sgpr_workgroup_info 0
		.amdhsa_system_vgpr_workitem_id 0
		.amdhsa_next_free_vgpr 1
		.amdhsa_next_free_sgpr 1
		.amdhsa_reserve_vcc 0
		.amdhsa_float_round_mode_32 0
		.amdhsa_float_round_mode_16_64 0
		.amdhsa_float_denorm_mode_32 3
		.amdhsa_float_denorm_mode_16_64 3
		.amdhsa_dx10_clamp 1
		.amdhsa_ieee_mode 1
		.amdhsa_fp16_overflow 0
		.amdhsa_workgroup_processor_mode 1
		.amdhsa_memory_ordered 1
		.amdhsa_forward_progress 0
		.amdhsa_shared_vgpr_count 0
		.amdhsa_exception_fp_ieee_invalid_op 0
		.amdhsa_exception_fp_denorm_src 0
		.amdhsa_exception_fp_ieee_div_zero 0
		.amdhsa_exception_fp_ieee_overflow 0
		.amdhsa_exception_fp_ieee_underflow 0
		.amdhsa_exception_fp_ieee_inexact 0
		.amdhsa_exception_int_div_zero 0
	.end_amdhsa_kernel
	.section	.text._ZN7rocprim17ROCPRIM_304000_NS6detail20lookback_scan_kernelILNS1_25lookback_scan_determinismE0ELb0ENS1_19wrapped_scan_configINS0_14default_configElEEPKlPlSt4plusIvEllNS1_19lookback_scan_stateIlLb1ELb1EEEEEvT2_T3_mT5_T4_T7_jPT6_SK_bb,"axG",@progbits,_ZN7rocprim17ROCPRIM_304000_NS6detail20lookback_scan_kernelILNS1_25lookback_scan_determinismE0ELb0ENS1_19wrapped_scan_configINS0_14default_configElEEPKlPlSt4plusIvEllNS1_19lookback_scan_stateIlLb1ELb1EEEEEvT2_T3_mT5_T4_T7_jPT6_SK_bb,comdat
.Lfunc_end8:
	.size	_ZN7rocprim17ROCPRIM_304000_NS6detail20lookback_scan_kernelILNS1_25lookback_scan_determinismE0ELb0ENS1_19wrapped_scan_configINS0_14default_configElEEPKlPlSt4plusIvEllNS1_19lookback_scan_stateIlLb1ELb1EEEEEvT2_T3_mT5_T4_T7_jPT6_SK_bb, .Lfunc_end8-_ZN7rocprim17ROCPRIM_304000_NS6detail20lookback_scan_kernelILNS1_25lookback_scan_determinismE0ELb0ENS1_19wrapped_scan_configINS0_14default_configElEEPKlPlSt4plusIvEllNS1_19lookback_scan_stateIlLb1ELb1EEEEEvT2_T3_mT5_T4_T7_jPT6_SK_bb
                                        ; -- End function
	.section	.AMDGPU.csdata,"",@progbits
; Kernel info:
; codeLenInByte = 4
; NumSgprs: 0
; NumVgprs: 0
; ScratchSize: 0
; MemoryBound: 0
; FloatMode: 240
; IeeeMode: 1
; LDSByteSize: 0 bytes/workgroup (compile time only)
; SGPRBlocks: 0
; VGPRBlocks: 0
; NumSGPRsForWavesPerEU: 1
; NumVGPRsForWavesPerEU: 1
; Occupancy: 16
; WaveLimiterHint : 0
; COMPUTE_PGM_RSRC2:SCRATCH_EN: 0
; COMPUTE_PGM_RSRC2:USER_SGPR: 15
; COMPUTE_PGM_RSRC2:TRAP_HANDLER: 0
; COMPUTE_PGM_RSRC2:TGID_X_EN: 1
; COMPUTE_PGM_RSRC2:TGID_Y_EN: 0
; COMPUTE_PGM_RSRC2:TGID_Z_EN: 0
; COMPUTE_PGM_RSRC2:TIDIG_COMP_CNT: 0
	.section	.text._ZN7rocprim17ROCPRIM_304000_NS6detail20lookback_scan_kernelILNS1_25lookback_scan_determinismE0ELb0ENS1_19wrapped_scan_configINS0_14default_configElEEPKlPlSt4plusIvEllNS1_19lookback_scan_stateIlLb0ELb1EEEEEvT2_T3_mT5_T4_T7_jPT6_SK_bb,"axG",@progbits,_ZN7rocprim17ROCPRIM_304000_NS6detail20lookback_scan_kernelILNS1_25lookback_scan_determinismE0ELb0ENS1_19wrapped_scan_configINS0_14default_configElEEPKlPlSt4plusIvEllNS1_19lookback_scan_stateIlLb0ELb1EEEEEvT2_T3_mT5_T4_T7_jPT6_SK_bb,comdat
	.protected	_ZN7rocprim17ROCPRIM_304000_NS6detail20lookback_scan_kernelILNS1_25lookback_scan_determinismE0ELb0ENS1_19wrapped_scan_configINS0_14default_configElEEPKlPlSt4plusIvEllNS1_19lookback_scan_stateIlLb0ELb1EEEEEvT2_T3_mT5_T4_T7_jPT6_SK_bb ; -- Begin function _ZN7rocprim17ROCPRIM_304000_NS6detail20lookback_scan_kernelILNS1_25lookback_scan_determinismE0ELb0ENS1_19wrapped_scan_configINS0_14default_configElEEPKlPlSt4plusIvEllNS1_19lookback_scan_stateIlLb0ELb1EEEEEvT2_T3_mT5_T4_T7_jPT6_SK_bb
	.globl	_ZN7rocprim17ROCPRIM_304000_NS6detail20lookback_scan_kernelILNS1_25lookback_scan_determinismE0ELb0ENS1_19wrapped_scan_configINS0_14default_configElEEPKlPlSt4plusIvEllNS1_19lookback_scan_stateIlLb0ELb1EEEEEvT2_T3_mT5_T4_T7_jPT6_SK_bb
	.p2align	8
	.type	_ZN7rocprim17ROCPRIM_304000_NS6detail20lookback_scan_kernelILNS1_25lookback_scan_determinismE0ELb0ENS1_19wrapped_scan_configINS0_14default_configElEEPKlPlSt4plusIvEllNS1_19lookback_scan_stateIlLb0ELb1EEEEEvT2_T3_mT5_T4_T7_jPT6_SK_bb,@function
_ZN7rocprim17ROCPRIM_304000_NS6detail20lookback_scan_kernelILNS1_25lookback_scan_determinismE0ELb0ENS1_19wrapped_scan_configINS0_14default_configElEEPKlPlSt4plusIvEllNS1_19lookback_scan_stateIlLb0ELb1EEEEEvT2_T3_mT5_T4_T7_jPT6_SK_bb: ; @_ZN7rocprim17ROCPRIM_304000_NS6detail20lookback_scan_kernelILNS1_25lookback_scan_determinismE0ELb0ENS1_19wrapped_scan_configINS0_14default_configElEEPKlPlSt4plusIvEllNS1_19lookback_scan_stateIlLb0ELb1EEEEEvT2_T3_mT5_T4_T7_jPT6_SK_bb
; %bb.0:
	s_clause 0x2
	s_load_b32 s10, s[0:1], 0x30
	s_load_b64 s[2:3], s[0:1], 0x10
	s_load_b128 s[4:7], s[0:1], 0x0
	s_lshl_b32 s8, s15, 12
	s_mov_b32 s9, 0
	v_lshlrev_b32_e32 v80, 3, v0
	v_lshrrev_b32_e32 v37, 2, v0
	v_or_b32_e32 v79, 0x100, v0
	v_or_b32_e32 v78, 0x200, v0
	;; [unrolled: 1-line block ×13, first 2 shown]
	s_waitcnt lgkmcnt(0)
	s_add_i32 s10, s10, -1
	v_or_b32_e32 v66, 0xe00, v0
	s_lshl_b32 s11, s10, 12
	v_or_b32_e32 v65, 0xf00, v0
	s_sub_u32 s14, s2, s11
	s_subb_u32 s16, s3, 0
	s_cmp_lg_u32 s15, s10
	s_mov_b32 s3, -1
	s_cselect_b32 s17, -1, 0
	s_lshl_b64 s[12:13], s[8:9], 3
	s_delay_alu instid0(SALU_CYCLE_1)
	s_add_u32 s4, s4, s12
	s_addc_u32 s5, s5, s13
	s_and_b32 vcc_lo, exec_lo, s17
	s_cbranch_vccz .LBB9_2
; %bb.1:
	v_add_co_u32 v27, s2, s4, v80
	s_delay_alu instid0(VALU_DEP_1)
	v_add_co_ci_u32_e64 v28, null, s5, 0, s2
	s_clause 0x1
	global_load_b64 v[1:2], v80, s[4:5]
	global_load_b64 v[3:4], v80, s[4:5] offset:2048
	v_add_co_u32 v5, vcc_lo, 0x1000, v27
	v_add_co_ci_u32_e32 v6, vcc_lo, 0, v28, vcc_lo
	v_add_co_u32 v7, vcc_lo, v27, 0x2000
	v_add_co_ci_u32_e32 v8, vcc_lo, 0, v28, vcc_lo
	v_add_co_u32 v9, vcc_lo, 0x2000, v27
	v_add_co_ci_u32_e32 v10, vcc_lo, 0, v28, vcc_lo
	v_add_co_u32 v11, vcc_lo, 0x3000, v27
	v_add_co_ci_u32_e32 v12, vcc_lo, 0, v28, vcc_lo
	v_add_co_u32 v13, vcc_lo, v27, 0x4000
	v_add_co_ci_u32_e32 v14, vcc_lo, 0, v28, vcc_lo
	v_add_co_u32 v15, vcc_lo, 0x4000, v27
	v_add_co_ci_u32_e32 v16, vcc_lo, 0, v28, vcc_lo
	v_add_co_u32 v21, vcc_lo, 0x5000, v27
	v_add_co_ci_u32_e32 v22, vcc_lo, 0, v28, vcc_lo
	v_add_co_u32 v23, vcc_lo, v27, 0x6000
	v_add_co_ci_u32_e32 v24, vcc_lo, 0, v28, vcc_lo
	v_add_co_u32 v25, vcc_lo, 0x6000, v27
	v_add_co_ci_u32_e32 v26, vcc_lo, 0, v28, vcc_lo
	v_add_co_u32 v27, vcc_lo, 0x7000, v27
	v_add_co_ci_u32_e32 v28, vcc_lo, 0, v28, vcc_lo
	s_clause 0xd
	global_load_b64 v[17:18], v[7:8], off offset:-4096
	global_load_b64 v[7:8], v[7:8], off
	global_load_b64 v[19:20], v[13:14], off offset:-4096
	global_load_b64 v[13:14], v[13:14], off
	global_load_b64 v[5:6], v[5:6], off offset:2048
	global_load_b64 v[9:10], v[9:10], off offset:2048
	;; [unrolled: 1-line block ×4, first 2 shown]
	global_load_b64 v[29:30], v[23:24], off offset:-4096
	global_load_b64 v[21:22], v[21:22], off offset:2048
	global_load_b64 v[23:24], v[23:24], off
	global_load_b64 v[25:26], v[25:26], off offset:2048
	global_load_b64 v[31:32], v[27:28], off
	global_load_b64 v[27:28], v[27:28], off offset:2048
	v_lshrrev_b32_e32 v34, 2, v79
	v_lshrrev_b32_e32 v35, 2, v78
	;; [unrolled: 1-line block ×4, first 2 shown]
	v_and_b32_e32 v33, 56, v37
	v_lshrrev_b32_e32 v39, 2, v75
	v_lshrrev_b32_e32 v40, 2, v74
	;; [unrolled: 1-line block ×11, first 2 shown]
	v_and_b32_e32 v34, 0x78, v34
	v_and_b32_e32 v35, 0xb8, v35
	;; [unrolled: 1-line block ×4, first 2 shown]
	v_add_nc_u32_e32 v33, v33, v80
	v_and_b32_e32 v39, 0x178, v39
	v_and_b32_e32 v40, 0x1b8, v40
	;; [unrolled: 1-line block ×11, first 2 shown]
	v_add_nc_u32_e32 v34, v34, v80
	v_add_nc_u32_e32 v35, v35, v80
	;; [unrolled: 1-line block ×4, first 2 shown]
	s_mov_b32 s3, 0
	v_add_nc_u32_e32 v39, v39, v80
	v_add_nc_u32_e32 v40, v40, v80
	;; [unrolled: 1-line block ×11, first 2 shown]
	s_waitcnt vmcnt(15)
	ds_store_b64 v33, v[1:2]
	s_waitcnt vmcnt(14)
	ds_store_b64 v34, v[3:4] offset:2048
	s_waitcnt vmcnt(13)
	ds_store_b64 v35, v[17:18] offset:4096
	;; [unrolled: 2-line block ×3, first 2 shown]
	ds_store_b64 v38, v[7:8] offset:8192
	s_waitcnt vmcnt(8)
	ds_store_b64 v39, v[9:10] offset:10240
	ds_store_b64 v40, v[19:20] offset:12288
	s_waitcnt vmcnt(7)
	ds_store_b64 v41, v[11:12] offset:14336
	;; [unrolled: 3-line block ×3, first 2 shown]
	s_waitcnt vmcnt(5)
	ds_store_b64 v44, v[29:30] offset:20480
	s_waitcnt vmcnt(4)
	ds_store_b64 v45, v[21:22] offset:22528
	;; [unrolled: 2-line block ×6, first 2 shown]
	s_waitcnt lgkmcnt(0)
	s_barrier
.LBB9_2:
	v_cmp_gt_u32_e64 s2, s14, v0
	s_and_not1_b32 vcc_lo, exec_lo, s3
	s_cbranch_vccnz .LBB9_21
; %bb.3:
	s_load_b64 s[36:37], s[4:5], 0x0
	v_add_co_u32 v35, s3, s4, v80
	s_delay_alu instid0(VALU_DEP_1)
	v_add_co_ci_u32_e64 v36, null, s5, 0, s3
	s_waitcnt lgkmcnt(0)
	s_mov_b32 s38, s36
	s_mov_b32 s39, s37
	;; [unrolled: 1-line block ×30, first 2 shown]
	v_dual_mov_b32 v1, s36 :: v_dual_mov_b32 v2, s37
	v_dual_mov_b32 v3, s38 :: v_dual_mov_b32 v4, s39
	;; [unrolled: 1-line block ×17, first 2 shown]
	s_and_saveexec_b32 s3, s2
	s_cbranch_execnz .LBB9_168
; %bb.4:
	s_or_b32 exec_lo, exec_lo, s3
	s_delay_alu instid0(SALU_CYCLE_1)
	s_mov_b32 s2, exec_lo
	v_cmpx_gt_u32_e64 s14, v79
	s_cbranch_execnz .LBB9_169
.LBB9_5:
	s_or_b32 exec_lo, exec_lo, s2
	s_delay_alu instid0(SALU_CYCLE_1)
	s_mov_b32 s2, exec_lo
	v_cmpx_gt_u32_e64 s14, v78
	s_cbranch_execnz .LBB9_170
.LBB9_6:
	s_or_b32 exec_lo, exec_lo, s2
	s_delay_alu instid0(SALU_CYCLE_1)
	s_mov_b32 s2, exec_lo
	v_cmpx_gt_u32_e64 s14, v77
	s_cbranch_execnz .LBB9_171
.LBB9_7:
	s_or_b32 exec_lo, exec_lo, s2
	s_delay_alu instid0(SALU_CYCLE_1)
	s_mov_b32 s2, exec_lo
	v_cmpx_gt_u32_e64 s14, v76
	s_cbranch_execnz .LBB9_172
.LBB9_8:
	s_or_b32 exec_lo, exec_lo, s2
	s_delay_alu instid0(SALU_CYCLE_1)
	s_mov_b32 s2, exec_lo
	v_cmpx_gt_u32_e64 s14, v75
	s_cbranch_execnz .LBB9_173
.LBB9_9:
	s_or_b32 exec_lo, exec_lo, s2
	s_delay_alu instid0(SALU_CYCLE_1)
	s_mov_b32 s2, exec_lo
	v_cmpx_gt_u32_e64 s14, v74
	s_cbranch_execnz .LBB9_174
.LBB9_10:
	s_or_b32 exec_lo, exec_lo, s2
	s_delay_alu instid0(SALU_CYCLE_1)
	s_mov_b32 s2, exec_lo
	v_cmpx_gt_u32_e64 s14, v73
	s_cbranch_execnz .LBB9_175
.LBB9_11:
	s_or_b32 exec_lo, exec_lo, s2
	s_delay_alu instid0(SALU_CYCLE_1)
	s_mov_b32 s2, exec_lo
	v_cmpx_gt_u32_e64 s14, v72
	s_cbranch_execnz .LBB9_176
.LBB9_12:
	s_or_b32 exec_lo, exec_lo, s2
	s_delay_alu instid0(SALU_CYCLE_1)
	s_mov_b32 s2, exec_lo
	v_cmpx_gt_u32_e64 s14, v71
	s_cbranch_execnz .LBB9_177
.LBB9_13:
	s_or_b32 exec_lo, exec_lo, s2
	s_delay_alu instid0(SALU_CYCLE_1)
	s_mov_b32 s2, exec_lo
	v_cmpx_gt_u32_e64 s14, v70
	s_cbranch_execnz .LBB9_178
.LBB9_14:
	s_or_b32 exec_lo, exec_lo, s2
	s_delay_alu instid0(SALU_CYCLE_1)
	s_mov_b32 s2, exec_lo
	v_cmpx_gt_u32_e64 s14, v69
	s_cbranch_execnz .LBB9_179
.LBB9_15:
	s_or_b32 exec_lo, exec_lo, s2
	s_delay_alu instid0(SALU_CYCLE_1)
	s_mov_b32 s2, exec_lo
	v_cmpx_gt_u32_e64 s14, v68
	s_cbranch_execnz .LBB9_180
.LBB9_16:
	s_or_b32 exec_lo, exec_lo, s2
	s_delay_alu instid0(SALU_CYCLE_1)
	s_mov_b32 s2, exec_lo
	v_cmpx_gt_u32_e64 s14, v67
	s_cbranch_execnz .LBB9_181
.LBB9_17:
	s_or_b32 exec_lo, exec_lo, s2
	s_delay_alu instid0(SALU_CYCLE_1)
	s_mov_b32 s2, exec_lo
	v_cmpx_gt_u32_e64 s14, v66
	s_cbranch_execnz .LBB9_182
.LBB9_18:
	s_or_b32 exec_lo, exec_lo, s2
	s_delay_alu instid0(SALU_CYCLE_1)
	s_mov_b32 s2, exec_lo
	v_cmpx_gt_u32_e64 s14, v65
	s_cbranch_execz .LBB9_20
.LBB9_19:
	v_add_co_u32 v1, vcc_lo, 0x7000, v35
	v_add_co_ci_u32_e32 v2, vcc_lo, 0, v36, vcc_lo
	global_load_b64 v[31:32], v[1:2], off offset:2048
.LBB9_20:
	s_or_b32 exec_lo, exec_lo, s2
	v_lshrrev_b32_e32 v1, 2, v79
	v_lshrrev_b32_e32 v2, 2, v78
	;; [unrolled: 1-line block ×3, first 2 shown]
	v_and_b32_e32 v36, 56, v37
	v_lshrrev_b32_e32 v37, 2, v76
	v_and_b32_e32 v1, 0x78, v1
	v_and_b32_e32 v2, 0xf8, v2
	;; [unrolled: 1-line block ×3, first 2 shown]
	v_lshrrev_b32_e32 v38, 2, v75
	v_add_nc_u32_e32 v36, v36, v80
	v_add_nc_u32_e32 v1, v1, v80
	v_lshrrev_b32_e32 v39, 2, v74
	v_add_nc_u32_e32 v2, v2, v80
	v_lshrrev_b32_e32 v40, 2, v73
	v_add_nc_u32_e32 v35, v35, v80
	v_and_b32_e32 v37, 0x1f8, v37
	v_and_b32_e32 v38, 0x1f8, v38
	s_waitcnt vmcnt(0)
	ds_store_b64 v36, v[33:34]
	ds_store_b64 v1, v[3:4] offset:2048
	ds_store_b64 v2, v[5:6] offset:4096
	ds_store_b64 v35, v[7:8] offset:6144
	v_lshrrev_b32_e32 v5, 2, v72
	v_and_b32_e32 v3, 0x1f8, v39
	v_lshrrev_b32_e32 v6, 2, v71
	v_lshrrev_b32_e32 v7, 2, v70
	v_and_b32_e32 v4, 0x1f8, v40
	v_add_nc_u32_e32 v1, v37, v80
	v_add_nc_u32_e32 v2, v38, v80
	v_and_b32_e32 v5, 0x3f8, v5
	v_add_nc_u32_e32 v3, v3, v80
	v_and_b32_e32 v6, 0x3f8, v6
	v_and_b32_e32 v7, 0x3f8, v7
	v_add_nc_u32_e32 v4, v4, v80
	ds_store_b64 v1, v[9:10] offset:8192
	ds_store_b64 v2, v[11:12] offset:10240
	;; [unrolled: 1-line block ×4, first 2 shown]
	v_lshrrev_b32_e32 v4, 2, v69
	v_add_nc_u32_e32 v1, v5, v80
	v_lshrrev_b32_e32 v5, 2, v68
	v_add_nc_u32_e32 v2, v6, v80
	v_add_nc_u32_e32 v3, v7, v80
	v_lshrrev_b32_e32 v6, 2, v67
	v_lshrrev_b32_e32 v7, 2, v66
	;; [unrolled: 1-line block ×3, first 2 shown]
	v_and_b32_e32 v4, 0x3f8, v4
	v_and_b32_e32 v5, 0x3f8, v5
	;; [unrolled: 1-line block ×5, first 2 shown]
	v_add_nc_u32_e32 v4, v4, v80
	v_add_nc_u32_e32 v5, v5, v80
	;; [unrolled: 1-line block ×5, first 2 shown]
	ds_store_b64 v1, v[17:18] offset:16384
	ds_store_b64 v2, v[19:20] offset:18432
	;; [unrolled: 1-line block ×8, first 2 shown]
	s_waitcnt lgkmcnt(0)
	s_barrier
.LBB9_21:
	v_lshlrev_b32_e32 v1, 4, v0
	v_lshrrev_b32_e32 v82, 1, v0
	buffer_gl0_inv
	s_load_b64 s[4:5], s[0:1], 0x28
	v_lshrrev_b32_e32 v81, 5, v0
	v_cmp_gt_u32_e32 vcc_lo, 32, v0
	v_add_lshl_u32 v1, v82, v1, 3
	s_cmp_lg_u32 s15, 0
	ds_load_2addr_b64 v[57:60], v1 offset1:1
	ds_load_2addr_b64 v[61:64], v1 offset0:2 offset1:3
	ds_load_2addr_b64 v[53:56], v1 offset0:4 offset1:5
	;; [unrolled: 1-line block ×7, first 2 shown]
	s_waitcnt lgkmcnt(0)
	s_barrier
	buffer_gl0_inv
	s_cbranch_scc0 .LBB9_74
; %bb.22:
	v_add_co_u32 v1, s2, v59, v57
	s_delay_alu instid0(VALU_DEP_1) | instskip(SKIP_1) | instid1(VALU_DEP_3)
	v_add_co_ci_u32_e64 v2, s2, v60, v58, s2
	v_add_lshl_u32 v3, v81, v0, 3
	v_add_co_u32 v1, s2, v1, v61
	s_delay_alu instid0(VALU_DEP_1) | instskip(NEXT) | instid1(VALU_DEP_2)
	v_add_co_ci_u32_e64 v2, s2, v2, v62, s2
	v_add_co_u32 v1, s2, v1, v63
	s_delay_alu instid0(VALU_DEP_1) | instskip(NEXT) | instid1(VALU_DEP_2)
	v_add_co_ci_u32_e64 v2, s2, v2, v64, s2
	;; [unrolled: 3-line block ×13, first 2 shown]
	v_add_co_u32 v17, s2, v1, v35
	s_delay_alu instid0(VALU_DEP_1)
	v_add_co_ci_u32_e64 v18, s2, v2, v36, s2
	ds_store_b64 v3, v[17:18]
	s_waitcnt lgkmcnt(0)
	s_barrier
	buffer_gl0_inv
	s_and_saveexec_b32 s3, vcc_lo
	s_cbranch_execz .LBB9_32
; %bb.23:
	v_lshlrev_b32_e32 v1, 1, v0
	v_mbcnt_lo_u32_b32 v24, -1, 0
	s_mov_b32 s8, exec_lo
	s_delay_alu instid0(VALU_DEP_2) | instskip(NEXT) | instid1(VALU_DEP_2)
	v_and_b32_e32 v1, 0x1f8, v1
	v_and_b32_e32 v25, 15, v24
	s_delay_alu instid0(VALU_DEP_2)
	v_lshl_or_b32 v23, v0, 6, v1
	ds_load_2addr_b64 v[1:4], v23 offset1:1
	ds_load_2addr_b64 v[5:8], v23 offset0:2 offset1:3
	ds_load_2addr_b64 v[9:12], v23 offset0:4 offset1:5
	;; [unrolled: 1-line block ×3, first 2 shown]
	s_waitcnt lgkmcnt(3)
	v_add_co_u32 v19, s2, v3, v1
	s_delay_alu instid0(VALU_DEP_1) | instskip(SKIP_1) | instid1(VALU_DEP_2)
	v_add_co_ci_u32_e64 v20, s2, v4, v2, s2
	s_waitcnt lgkmcnt(2)
	v_add_co_u32 v19, s2, v19, v5
	s_delay_alu instid0(VALU_DEP_1) | instskip(NEXT) | instid1(VALU_DEP_2)
	v_add_co_ci_u32_e64 v20, s2, v20, v6, s2
	v_add_co_u32 v19, s2, v19, v7
	s_delay_alu instid0(VALU_DEP_1) | instskip(SKIP_1) | instid1(VALU_DEP_2)
	v_add_co_ci_u32_e64 v20, s2, v20, v8, s2
	s_waitcnt lgkmcnt(1)
	v_add_co_u32 v19, s2, v19, v9
	s_delay_alu instid0(VALU_DEP_1) | instskip(NEXT) | instid1(VALU_DEP_2)
	v_add_co_ci_u32_e64 v20, s2, v20, v10, s2
	;; [unrolled: 7-line block ×3, first 2 shown]
	v_add_co_u32 v19, s2, v19, v15
	s_delay_alu instid0(VALU_DEP_1) | instskip(NEXT) | instid1(VALU_DEP_2)
	v_add_co_ci_u32_e64 v20, s2, v20, v16, s2
	v_mov_b32_dpp v27, v19 row_shr:1 row_mask:0xf bank_mask:0xf
	s_delay_alu instid0(VALU_DEP_2)
	v_mov_b32_e32 v22, v20
	v_mov_b32_dpp v26, v20 row_shr:1 row_mask:0xf bank_mask:0xf
	v_mov_b32_e32 v21, v19
	v_cmpx_ne_u32_e32 0, v25
; %bb.24:
	v_add_co_u32 v19, s2, v19, v27
	s_delay_alu instid0(VALU_DEP_1) | instskip(NEXT) | instid1(VALU_DEP_2)
	v_add_co_ci_u32_e64 v20, s2, 0, v20, s2
	v_add_co_u32 v21, s2, 0, v19
	s_delay_alu instid0(VALU_DEP_1) | instskip(NEXT) | instid1(VALU_DEP_1)
	v_add_co_ci_u32_e64 v22, s2, v26, v20, s2
	v_mov_b32_e32 v20, v22
; %bb.25:
	s_or_b32 exec_lo, exec_lo, s8
	v_mov_b32_dpp v27, v19 row_shr:2 row_mask:0xf bank_mask:0xf
	s_delay_alu instid0(VALU_DEP_2)
	v_mov_b32_dpp v26, v20 row_shr:2 row_mask:0xf bank_mask:0xf
	s_mov_b32 s8, exec_lo
	v_cmpx_lt_u32_e32 1, v25
; %bb.26:
	s_delay_alu instid0(VALU_DEP_3) | instskip(NEXT) | instid1(VALU_DEP_1)
	v_add_co_u32 v19, s2, v21, v27
	v_add_co_ci_u32_e64 v20, s2, 0, v22, s2
	s_delay_alu instid0(VALU_DEP_2) | instskip(NEXT) | instid1(VALU_DEP_1)
	v_add_co_u32 v21, s2, 0, v19
	v_add_co_ci_u32_e64 v22, s2, v26, v20, s2
	s_delay_alu instid0(VALU_DEP_1)
	v_mov_b32_e32 v20, v22
; %bb.27:
	s_or_b32 exec_lo, exec_lo, s8
	v_mov_b32_dpp v27, v19 row_shr:4 row_mask:0xf bank_mask:0xf
	s_delay_alu instid0(VALU_DEP_2)
	v_mov_b32_dpp v26, v20 row_shr:4 row_mask:0xf bank_mask:0xf
	s_mov_b32 s8, exec_lo
	v_cmpx_lt_u32_e32 3, v25
; %bb.28:
	s_delay_alu instid0(VALU_DEP_3) | instskip(NEXT) | instid1(VALU_DEP_1)
	v_add_co_u32 v19, s2, v21, v27
	v_add_co_ci_u32_e64 v20, s2, 0, v22, s2
	s_delay_alu instid0(VALU_DEP_2) | instskip(NEXT) | instid1(VALU_DEP_1)
	v_add_co_u32 v21, s2, 0, v19
	v_add_co_ci_u32_e64 v22, s2, v26, v20, s2
	s_delay_alu instid0(VALU_DEP_1)
	;; [unrolled: 16-line block ×3, first 2 shown]
	v_mov_b32_e32 v20, v22
; %bb.31:
	s_or_b32 exec_lo, exec_lo, s8
	ds_swizzle_b32 v25, v19 offset:swizzle(BROADCAST,32,15)
	ds_swizzle_b32 v26, v20 offset:swizzle(BROADCAST,32,15)
	v_add_nc_u32_e32 v27, -1, v24
	v_and_b32_e32 v28, 16, v24
	s_delay_alu instid0(VALU_DEP_2) | instskip(NEXT) | instid1(VALU_DEP_1)
	v_cmp_gt_i32_e64 s2, 0, v27
	v_cndmask_b32_e64 v24, v27, v24, s2
	s_delay_alu instid0(VALU_DEP_1) | instskip(SKIP_2) | instid1(VALU_DEP_1)
	v_lshlrev_b32_e32 v24, 2, v24
	s_waitcnt lgkmcnt(1)
	v_add_co_u32 v21, s2, v21, v25
	v_add_co_ci_u32_e64 v22, s2, 0, v22, s2
	v_cmp_eq_u32_e64 s2, 0, v28
	s_delay_alu instid0(VALU_DEP_1) | instskip(SKIP_1) | instid1(VALU_DEP_3)
	v_cndmask_b32_e64 v19, v21, v19, s2
	s_waitcnt lgkmcnt(0)
	v_add_nc_u32_e32 v21, v26, v22
	ds_bpermute_b32 v19, v24, v19
	v_cndmask_b32_e64 v20, v21, v20, s2
	ds_bpermute_b32 v20, v24, v20
	s_waitcnt lgkmcnt(1)
	v_add_co_u32 v1, s2, v1, v19
	s_delay_alu instid0(VALU_DEP_1) | instskip(NEXT) | instid1(VALU_DEP_2)
	v_add_co_ci_u32_e64 v2, s2, 0, v2, s2
	v_add_co_u32 v1, s2, v1, 0
	s_waitcnt lgkmcnt(0)
	s_delay_alu instid0(VALU_DEP_2) | instskip(SKIP_1) | instid1(VALU_DEP_1)
	v_add_co_ci_u32_e64 v2, s2, v2, v20, s2
	v_cmp_eq_u32_e64 s2, 0, v0
	v_cndmask_b32_e64 v1, v1, v17, s2
	s_delay_alu instid0(VALU_DEP_3) | instskip(NEXT) | instid1(VALU_DEP_2)
	v_cndmask_b32_e64 v2, v2, v18, s2
	v_add_co_u32 v3, s2, v1, v3
	s_delay_alu instid0(VALU_DEP_1) | instskip(NEXT) | instid1(VALU_DEP_2)
	v_add_co_ci_u32_e64 v4, s2, v2, v4, s2
	v_add_co_u32 v5, s2, v3, v5
	s_delay_alu instid0(VALU_DEP_1) | instskip(NEXT) | instid1(VALU_DEP_2)
	v_add_co_ci_u32_e64 v6, s2, v4, v6, s2
	v_add_co_u32 v7, s2, v5, v7
	s_delay_alu instid0(VALU_DEP_1) | instskip(NEXT) | instid1(VALU_DEP_2)
	v_add_co_ci_u32_e64 v8, s2, v6, v8, s2
	v_add_co_u32 v9, s2, v7, v9
	s_delay_alu instid0(VALU_DEP_1) | instskip(NEXT) | instid1(VALU_DEP_2)
	v_add_co_ci_u32_e64 v10, s2, v8, v10, s2
	v_add_co_u32 v11, s2, v9, v11
	s_delay_alu instid0(VALU_DEP_1) | instskip(NEXT) | instid1(VALU_DEP_2)
	v_add_co_ci_u32_e64 v12, s2, v10, v12, s2
	v_add_co_u32 v13, s2, v11, v13
	s_delay_alu instid0(VALU_DEP_1) | instskip(NEXT) | instid1(VALU_DEP_2)
	v_add_co_ci_u32_e64 v14, s2, v12, v14, s2
	v_add_co_u32 v15, s2, v13, v15
	s_delay_alu instid0(VALU_DEP_1)
	v_add_co_ci_u32_e64 v16, s2, v14, v16, s2
	ds_store_2addr_b64 v23, v[1:2], v[3:4] offset1:1
	ds_store_2addr_b64 v23, v[5:6], v[7:8] offset0:2 offset1:3
	ds_store_2addr_b64 v23, v[9:10], v[11:12] offset0:4 offset1:5
	;; [unrolled: 1-line block ×3, first 2 shown]
.LBB9_32:
	s_or_b32 exec_lo, exec_lo, s3
	v_mov_b32_e32 v7, 0
	v_cmp_eq_u32_e64 s2, 0, v0
	v_mov_b32_e32 v8, 0
	s_mov_b32 s8, exec_lo
	s_waitcnt lgkmcnt(0)
	s_barrier
	buffer_gl0_inv
	v_cmpx_ne_u32_e32 0, v0
	s_cbranch_execz .LBB9_34
; %bb.33:
	v_add_nc_u32_e32 v1, -1, v0
	s_delay_alu instid0(VALU_DEP_1) | instskip(NEXT) | instid1(VALU_DEP_1)
	v_lshrrev_b32_e32 v2, 5, v1
	v_add_lshl_u32 v1, v2, v1, 3
	ds_load_b64 v[7:8], v1
.LBB9_34:
	s_or_b32 exec_lo, exec_lo, s8
	s_and_saveexec_b32 s10, vcc_lo
	s_cbranch_execz .LBB9_73
; %bb.35:
	v_mov_b32_e32 v4, 0
	v_mbcnt_lo_u32_b32 v12, -1, 0
	ds_load_b64 v[1:2], v4 offset:2096
	v_cmp_eq_u32_e64 s3, 0, v12
	s_delay_alu instid0(VALU_DEP_1)
	s_and_saveexec_b32 s11, s3
	s_cbranch_execz .LBB9_37
; %bb.36:
	s_add_i32 s8, s15, 32
	s_delay_alu instid0(SALU_CYCLE_1) | instskip(NEXT) | instid1(SALU_CYCLE_1)
	s_lshl_b64 s[8:9], s[8:9], 4
	s_add_u32 s8, s4, s8
	s_addc_u32 s9, s5, s9
	v_mov_b32_e32 v5, s8
	v_dual_mov_b32 v3, 1 :: v_dual_mov_b32 v6, s9
	s_waitcnt lgkmcnt(0)
	;;#ASMSTART
	global_store_dwordx4 v[5:6], v[1:4] off	
s_waitcnt vmcnt(0)
	;;#ASMEND
.LBB9_37:
	s_or_b32 exec_lo, exec_lo, s11
	v_xad_u32 v9, v12, -1, s15
	s_mov_b32 s8, exec_lo
	s_delay_alu instid0(VALU_DEP_1) | instskip(NEXT) | instid1(VALU_DEP_1)
	v_add_nc_u32_e32 v3, 32, v9
	v_lshlrev_b64 v[3:4], 4, v[3:4]
	s_delay_alu instid0(VALU_DEP_1) | instskip(NEXT) | instid1(VALU_DEP_2)
	v_add_co_u32 v10, vcc_lo, s4, v3
	v_add_co_ci_u32_e32 v11, vcc_lo, s5, v4, vcc_lo
	;;#ASMSTART
	global_load_dwordx4 v[3:6], v[10:11] off glc	
s_waitcnt vmcnt(0)
	;;#ASMEND
	v_and_b32_e32 v6, 0xff, v5
	s_delay_alu instid0(VALU_DEP_1)
	v_cmpx_eq_u16_e32 0, v6
	s_cbranch_execz .LBB9_41
; %bb.38:
	s_mov_b32 s9, 0
.LBB9_39:                               ; =>This Inner Loop Header: Depth=1
	;;#ASMSTART
	global_load_dwordx4 v[3:6], v[10:11] off glc	
s_waitcnt vmcnt(0)
	;;#ASMEND
	v_and_b32_e32 v6, 0xff, v5
	s_delay_alu instid0(VALU_DEP_1) | instskip(SKIP_1) | instid1(SALU_CYCLE_1)
	v_cmp_ne_u16_e32 vcc_lo, 0, v6
	s_or_b32 s9, vcc_lo, s9
	s_and_not1_b32 exec_lo, exec_lo, s9
	s_cbranch_execnz .LBB9_39
; %bb.40:
	s_or_b32 exec_lo, exec_lo, s9
.LBB9_41:
	s_delay_alu instid0(SALU_CYCLE_1)
	s_or_b32 exec_lo, exec_lo, s8
	v_cmp_ne_u32_e32 vcc_lo, 31, v12
	v_and_b32_e32 v10, 0xff, v5
	v_lshlrev_b32_e64 v16, v12, -1
	v_add_nc_u32_e32 v17, 1, v12
	s_mov_b32 s8, exec_lo
	v_add_co_ci_u32_e32 v6, vcc_lo, 0, v12, vcc_lo
	v_cmp_eq_u16_e32 vcc_lo, 2, v10
	s_delay_alu instid0(VALU_DEP_2) | instskip(SKIP_4) | instid1(VALU_DEP_1)
	v_dual_mov_b32 v10, v3 :: v_dual_lshlrev_b32 v15, 2, v6
	v_and_or_b32 v6, vcc_lo, v16, 0x80000000
	ds_bpermute_b32 v13, v15, v3
	ds_bpermute_b32 v11, v15, v4
	v_ctz_i32_b32_e32 v6, v6
	v_cmpx_le_u32_e64 v17, v6
	s_cbranch_execz .LBB9_43
; %bb.42:
	s_waitcnt lgkmcnt(1)
	v_add_co_u32 v10, vcc_lo, v3, v13
	v_add_co_ci_u32_e32 v4, vcc_lo, 0, v4, vcc_lo
	s_delay_alu instid0(VALU_DEP_2) | instskip(SKIP_1) | instid1(VALU_DEP_2)
	v_add_co_u32 v3, vcc_lo, 0, v10
	s_waitcnt lgkmcnt(0)
	v_add_co_ci_u32_e32 v4, vcc_lo, v11, v4, vcc_lo
.LBB9_43:
	s_or_b32 exec_lo, exec_lo, s8
	v_cmp_gt_u32_e32 vcc_lo, 30, v12
	v_add_nc_u32_e32 v19, 2, v12
	s_mov_b32 s8, exec_lo
	s_waitcnt lgkmcnt(0)
	v_cndmask_b32_e64 v11, 0, 1, vcc_lo
	s_delay_alu instid0(VALU_DEP_1) | instskip(NEXT) | instid1(VALU_DEP_1)
	v_lshlrev_b32_e32 v11, 1, v11
	v_add_lshl_u32 v18, v11, v12, 2
	ds_bpermute_b32 v13, v18, v10
	ds_bpermute_b32 v11, v18, v4
	v_cmpx_le_u32_e64 v19, v6
	s_cbranch_execz .LBB9_45
; %bb.44:
	s_waitcnt lgkmcnt(1)
	v_add_co_u32 v10, vcc_lo, v3, v13
	v_add_co_ci_u32_e32 v4, vcc_lo, 0, v4, vcc_lo
	s_delay_alu instid0(VALU_DEP_2) | instskip(SKIP_1) | instid1(VALU_DEP_2)
	v_add_co_u32 v3, vcc_lo, 0, v10
	s_waitcnt lgkmcnt(0)
	v_add_co_ci_u32_e32 v4, vcc_lo, v11, v4, vcc_lo
.LBB9_45:
	s_or_b32 exec_lo, exec_lo, s8
	v_cmp_gt_u32_e32 vcc_lo, 28, v12
	v_add_nc_u32_e32 v21, 4, v12
	s_mov_b32 s8, exec_lo
	s_waitcnt lgkmcnt(0)
	v_cndmask_b32_e64 v11, 0, 1, vcc_lo
	s_delay_alu instid0(VALU_DEP_1) | instskip(NEXT) | instid1(VALU_DEP_1)
	v_lshlrev_b32_e32 v11, 2, v11
	v_add_lshl_u32 v20, v11, v12, 2
	ds_bpermute_b32 v13, v20, v10
	ds_bpermute_b32 v11, v20, v4
	;; [unrolled: 22-line block ×4, first 2 shown]
	v_cmpx_le_u32_e64 v25, v6
	s_cbranch_execz .LBB9_51
; %bb.50:
	s_waitcnt lgkmcnt(1)
	v_add_co_u32 v3, vcc_lo, v3, v11
	v_add_co_ci_u32_e32 v4, vcc_lo, 0, v4, vcc_lo
	s_delay_alu instid0(VALU_DEP_2) | instskip(SKIP_1) | instid1(VALU_DEP_2)
	v_add_co_u32 v3, vcc_lo, v3, 0
	s_waitcnt lgkmcnt(0)
	v_add_co_ci_u32_e32 v4, vcc_lo, v4, v10, vcc_lo
.LBB9_51:
	s_or_b32 exec_lo, exec_lo, s8
	s_waitcnt lgkmcnt(0)
	v_mov_b32_e32 v10, 0
	s_branch .LBB9_53
.LBB9_52:                               ;   in Loop: Header=BB9_53 Depth=1
	s_or_b32 exec_lo, exec_lo, s8
	v_add_co_u32 v3, vcc_lo, v3, v11
	v_subrev_nc_u32_e32 v9, 32, v9
	v_add_co_ci_u32_e32 v4, vcc_lo, v4, v12, vcc_lo
.LBB9_53:                               ; =>This Loop Header: Depth=1
                                        ;     Child Loop BB9_56 Depth 2
	s_delay_alu instid0(VALU_DEP_1) | instskip(NEXT) | instid1(VALU_DEP_4)
	v_dual_mov_b32 v12, v4 :: v_dual_and_b32 v5, 0xff, v5
	v_mov_b32_e32 v11, v3
	s_delay_alu instid0(VALU_DEP_2) | instskip(SKIP_2) | instid1(VALU_DEP_1)
	v_cmp_ne_u16_e32 vcc_lo, 2, v5
	v_cndmask_b32_e64 v5, 0, 1, vcc_lo
	;;#ASMSTART
	;;#ASMEND
	v_cmp_ne_u32_e32 vcc_lo, 0, v5
	s_cmp_lg_u32 vcc_lo, exec_lo
	s_cbranch_scc1 .LBB9_68
; %bb.54:                               ;   in Loop: Header=BB9_53 Depth=1
	v_lshlrev_b64 v[3:4], 4, v[9:10]
	s_mov_b32 s8, exec_lo
	s_waitcnt lgkmcnt(0)
	s_delay_alu instid0(VALU_DEP_1) | instskip(NEXT) | instid1(VALU_DEP_2)
	v_add_co_u32 v13, vcc_lo, s4, v3
	v_add_co_ci_u32_e32 v14, vcc_lo, s5, v4, vcc_lo
	;;#ASMSTART
	global_load_dwordx4 v[3:6], v[13:14] off glc	
s_waitcnt vmcnt(0)
	;;#ASMEND
	v_and_b32_e32 v6, 0xff, v5
	s_delay_alu instid0(VALU_DEP_1)
	v_cmpx_eq_u16_e32 0, v6
	s_cbranch_execz .LBB9_58
; %bb.55:                               ;   in Loop: Header=BB9_53 Depth=1
	s_mov_b32 s9, 0
.LBB9_56:                               ;   Parent Loop BB9_53 Depth=1
                                        ; =>  This Inner Loop Header: Depth=2
	;;#ASMSTART
	global_load_dwordx4 v[3:6], v[13:14] off glc	
s_waitcnt vmcnt(0)
	;;#ASMEND
	v_and_b32_e32 v6, 0xff, v5
	s_delay_alu instid0(VALU_DEP_1) | instskip(SKIP_1) | instid1(SALU_CYCLE_1)
	v_cmp_ne_u16_e32 vcc_lo, 0, v6
	s_or_b32 s9, vcc_lo, s9
	s_and_not1_b32 exec_lo, exec_lo, s9
	s_cbranch_execnz .LBB9_56
; %bb.57:                               ;   in Loop: Header=BB9_53 Depth=1
	s_or_b32 exec_lo, exec_lo, s9
.LBB9_58:                               ;   in Loop: Header=BB9_53 Depth=1
	s_delay_alu instid0(SALU_CYCLE_1)
	s_or_b32 exec_lo, exec_lo, s8
	v_dual_mov_b32 v13, v3 :: v_dual_and_b32 v6, 0xff, v5
	ds_bpermute_b32 v26, v15, v3
	ds_bpermute_b32 v14, v15, v4
	s_mov_b32 s8, exec_lo
	v_cmp_eq_u16_e32 vcc_lo, 2, v6
	v_and_or_b32 v6, vcc_lo, v16, 0x80000000
	s_delay_alu instid0(VALU_DEP_1) | instskip(NEXT) | instid1(VALU_DEP_1)
	v_ctz_i32_b32_e32 v6, v6
	v_cmpx_le_u32_e64 v17, v6
	s_cbranch_execz .LBB9_60
; %bb.59:                               ;   in Loop: Header=BB9_53 Depth=1
	s_waitcnt lgkmcnt(1)
	v_add_co_u32 v13, vcc_lo, v3, v26
	v_add_co_ci_u32_e32 v4, vcc_lo, 0, v4, vcc_lo
	s_delay_alu instid0(VALU_DEP_2) | instskip(SKIP_1) | instid1(VALU_DEP_2)
	v_add_co_u32 v3, vcc_lo, 0, v13
	s_waitcnt lgkmcnt(0)
	v_add_co_ci_u32_e32 v4, vcc_lo, v14, v4, vcc_lo
.LBB9_60:                               ;   in Loop: Header=BB9_53 Depth=1
	s_or_b32 exec_lo, exec_lo, s8
	s_waitcnt lgkmcnt(1)
	ds_bpermute_b32 v26, v18, v13
	s_waitcnt lgkmcnt(1)
	ds_bpermute_b32 v14, v18, v4
	s_mov_b32 s8, exec_lo
	v_cmpx_le_u32_e64 v19, v6
	s_cbranch_execz .LBB9_62
; %bb.61:                               ;   in Loop: Header=BB9_53 Depth=1
	s_waitcnt lgkmcnt(1)
	v_add_co_u32 v13, vcc_lo, v3, v26
	v_add_co_ci_u32_e32 v4, vcc_lo, 0, v4, vcc_lo
	s_delay_alu instid0(VALU_DEP_2) | instskip(SKIP_1) | instid1(VALU_DEP_2)
	v_add_co_u32 v3, vcc_lo, 0, v13
	s_waitcnt lgkmcnt(0)
	v_add_co_ci_u32_e32 v4, vcc_lo, v14, v4, vcc_lo
.LBB9_62:                               ;   in Loop: Header=BB9_53 Depth=1
	s_or_b32 exec_lo, exec_lo, s8
	s_waitcnt lgkmcnt(1)
	ds_bpermute_b32 v26, v20, v13
	s_waitcnt lgkmcnt(1)
	ds_bpermute_b32 v14, v20, v4
	s_mov_b32 s8, exec_lo
	;; [unrolled: 17-line block ×3, first 2 shown]
	v_cmpx_le_u32_e64 v23, v6
	s_cbranch_execz .LBB9_66
; %bb.65:                               ;   in Loop: Header=BB9_53 Depth=1
	s_waitcnt lgkmcnt(1)
	v_add_co_u32 v13, vcc_lo, v3, v26
	v_add_co_ci_u32_e32 v4, vcc_lo, 0, v4, vcc_lo
	s_delay_alu instid0(VALU_DEP_2) | instskip(SKIP_1) | instid1(VALU_DEP_2)
	v_add_co_u32 v3, vcc_lo, 0, v13
	s_waitcnt lgkmcnt(0)
	v_add_co_ci_u32_e32 v4, vcc_lo, v14, v4, vcc_lo
.LBB9_66:                               ;   in Loop: Header=BB9_53 Depth=1
	s_or_b32 exec_lo, exec_lo, s8
	s_waitcnt lgkmcnt(0)
	ds_bpermute_b32 v14, v24, v13
	ds_bpermute_b32 v13, v24, v4
	s_mov_b32 s8, exec_lo
	v_cmpx_le_u32_e64 v25, v6
	s_cbranch_execz .LBB9_52
; %bb.67:                               ;   in Loop: Header=BB9_53 Depth=1
	s_waitcnt lgkmcnt(1)
	v_add_co_u32 v3, vcc_lo, v3, v14
	v_add_co_ci_u32_e32 v4, vcc_lo, 0, v4, vcc_lo
	s_delay_alu instid0(VALU_DEP_2) | instskip(SKIP_1) | instid1(VALU_DEP_2)
	v_add_co_u32 v3, vcc_lo, v3, 0
	s_waitcnt lgkmcnt(0)
	v_add_co_ci_u32_e32 v4, vcc_lo, v4, v13, vcc_lo
	s_branch .LBB9_52
.LBB9_68:                               ;   in Loop: Header=BB9_53 Depth=1
                                        ; implicit-def: $vgpr3_vgpr4
	s_cbranch_execz .LBB9_53
; %bb.69:
	s_and_saveexec_b32 s8, s3
	s_cbranch_execz .LBB9_71
; %bb.70:
	s_add_i32 s18, s15, 32
	s_mov_b32 s19, 0
	v_add_co_u32 v1, vcc_lo, v11, v1
	s_lshl_b64 s[18:19], s[18:19], 4
	v_add_co_ci_u32_e32 v2, vcc_lo, v12, v2, vcc_lo
	s_add_u32 s18, s4, s18
	s_addc_u32 s19, s5, s19
	v_dual_mov_b32 v3, 2 :: v_dual_mov_b32 v4, 0
	v_dual_mov_b32 v5, s18 :: v_dual_mov_b32 v6, s19
	;;#ASMSTART
	global_store_dwordx4 v[5:6], v[1:4] off	
s_waitcnt vmcnt(0)
	;;#ASMEND
.LBB9_71:
	s_or_b32 exec_lo, exec_lo, s8
	s_delay_alu instid0(SALU_CYCLE_1)
	s_and_b32 exec_lo, exec_lo, s2
	s_cbranch_execz .LBB9_73
; %bb.72:
	v_mov_b32_e32 v1, 0
	ds_store_b64 v1, v[11:12]
.LBB9_73:
	s_or_b32 exec_lo, exec_lo, s10
	v_mov_b32_e32 v1, 0
	s_waitcnt lgkmcnt(0)
	s_barrier
	buffer_gl0_inv
	v_add_co_u32 v3, vcc_lo, v7, v57
	ds_load_b64 v[1:2], v1
	v_add_co_ci_u32_e32 v4, vcc_lo, v8, v58, vcc_lo
	s_waitcnt lgkmcnt(0)
	v_add_co_u32 v1, vcc_lo, v3, v1
	s_delay_alu instid0(VALU_DEP_2) | instskip(NEXT) | instid1(VALU_DEP_2)
	v_add_co_ci_u32_e32 v2, vcc_lo, v4, v2, vcc_lo
	v_add_co_u32 v3, vcc_lo, v1, v59
	s_delay_alu instid0(VALU_DEP_2) | instskip(NEXT) | instid1(VALU_DEP_2)
	v_add_co_ci_u32_e32 v4, vcc_lo, v2, v60, vcc_lo
	;; [unrolled: 3-line block ×15, first 2 shown]
	v_add_co_u32 v31, vcc_lo, v29, v35
	s_delay_alu instid0(VALU_DEP_2)
	v_add_co_ci_u32_e32 v32, vcc_lo, v30, v36, vcc_lo
	s_load_b128 s[8:11], s[0:1], 0x38
	s_branch .LBB9_92
.LBB9_74:
                                        ; implicit-def: $vgpr1_vgpr2_vgpr3_vgpr4_vgpr5_vgpr6_vgpr7_vgpr8_vgpr9_vgpr10_vgpr11_vgpr12_vgpr13_vgpr14_vgpr15_vgpr16_vgpr17_vgpr18_vgpr19_vgpr20_vgpr21_vgpr22_vgpr23_vgpr24_vgpr25_vgpr26_vgpr27_vgpr28_vgpr29_vgpr30_vgpr31_vgpr32
	s_load_b128 s[8:11], s[0:1], 0x38
	s_cbranch_execz .LBB9_92
; %bb.75:
	s_load_b32 s2, s[0:1], 0x48
	v_cmp_eq_u32_e32 vcc_lo, 0, v0
	s_waitcnt lgkmcnt(0)
	s_bitcmp1_b32 s2, 0
	v_cmp_ne_u32_e64 s2, 0, v0
	s_cselect_b32 s3, -1, 0
	s_delay_alu instid0(SALU_CYCLE_1) | instskip(NEXT) | instid1(SALU_CYCLE_1)
	s_and_b32 s3, vcc_lo, s3
	s_and_saveexec_b32 s15, s3
	s_cbranch_execz .LBB9_77
; %bb.76:
	s_load_b64 s[8:9], s[8:9], 0x0
	s_waitcnt lgkmcnt(0)
	v_add_co_u32 v57, s3, s8, v57
	s_delay_alu instid0(VALU_DEP_1)
	v_add_co_ci_u32_e64 v58, s3, s9, v58, s3
.LBB9_77:
	s_or_b32 exec_lo, exec_lo, s15
	s_delay_alu instid0(VALU_DEP_2) | instskip(NEXT) | instid1(VALU_DEP_1)
	v_add_co_u32 v1, s3, v59, v57
	v_add_co_ci_u32_e64 v2, s3, v60, v58, s3
	v_add_lshl_u32 v3, v81, v0, 3
	s_delay_alu instid0(VALU_DEP_3) | instskip(NEXT) | instid1(VALU_DEP_1)
	v_add_co_u32 v1, s3, v1, v61
	v_add_co_ci_u32_e64 v2, s3, v2, v62, s3
	s_mov_b32 s8, exec_lo
	s_delay_alu instid0(VALU_DEP_2) | instskip(NEXT) | instid1(VALU_DEP_1)
	v_add_co_u32 v1, s3, v1, v63
	v_add_co_ci_u32_e64 v2, s3, v2, v64, s3
	s_delay_alu instid0(VALU_DEP_2) | instskip(NEXT) | instid1(VALU_DEP_1)
	v_add_co_u32 v1, s3, v1, v53
	v_add_co_ci_u32_e64 v2, s3, v2, v54, s3
	;; [unrolled: 3-line block ×13, first 2 shown]
	ds_store_b64 v3, v[17:18]
	s_waitcnt lgkmcnt(0)
	s_barrier
	buffer_gl0_inv
	v_cmpx_gt_u32_e32 32, v0
	s_cbranch_execz .LBB9_87
; %bb.78:
	v_lshlrev_b32_e32 v1, 1, v0
	v_mbcnt_lo_u32_b32 v24, -1, 0
	s_mov_b32 s9, exec_lo
	s_delay_alu instid0(VALU_DEP_2) | instskip(NEXT) | instid1(VALU_DEP_2)
	v_and_b32_e32 v1, 0x1f8, v1
	v_and_b32_e32 v25, 15, v24
	s_delay_alu instid0(VALU_DEP_2)
	v_lshl_or_b32 v23, v0, 6, v1
	ds_load_2addr_b64 v[1:4], v23 offset1:1
	ds_load_2addr_b64 v[5:8], v23 offset0:2 offset1:3
	ds_load_2addr_b64 v[9:12], v23 offset0:4 offset1:5
	;; [unrolled: 1-line block ×3, first 2 shown]
	s_waitcnt lgkmcnt(3)
	v_add_co_u32 v19, s3, v3, v1
	s_delay_alu instid0(VALU_DEP_1) | instskip(SKIP_1) | instid1(VALU_DEP_2)
	v_add_co_ci_u32_e64 v20, s3, v4, v2, s3
	s_waitcnt lgkmcnt(2)
	v_add_co_u32 v19, s3, v19, v5
	s_delay_alu instid0(VALU_DEP_1) | instskip(NEXT) | instid1(VALU_DEP_2)
	v_add_co_ci_u32_e64 v20, s3, v20, v6, s3
	v_add_co_u32 v19, s3, v19, v7
	s_delay_alu instid0(VALU_DEP_1) | instskip(SKIP_1) | instid1(VALU_DEP_2)
	v_add_co_ci_u32_e64 v20, s3, v20, v8, s3
	s_waitcnt lgkmcnt(1)
	v_add_co_u32 v19, s3, v19, v9
	s_delay_alu instid0(VALU_DEP_1) | instskip(NEXT) | instid1(VALU_DEP_2)
	v_add_co_ci_u32_e64 v20, s3, v20, v10, s3
	;; [unrolled: 7-line block ×3, first 2 shown]
	v_add_co_u32 v19, s3, v19, v15
	s_delay_alu instid0(VALU_DEP_1) | instskip(NEXT) | instid1(VALU_DEP_2)
	v_add_co_ci_u32_e64 v20, s3, v20, v16, s3
	v_mov_b32_dpp v27, v19 row_shr:1 row_mask:0xf bank_mask:0xf
	s_delay_alu instid0(VALU_DEP_2)
	v_mov_b32_e32 v22, v20
	v_mov_b32_dpp v26, v20 row_shr:1 row_mask:0xf bank_mask:0xf
	v_mov_b32_e32 v21, v19
	v_cmpx_ne_u32_e32 0, v25
; %bb.79:
	v_add_co_u32 v19, s3, v19, v27
	s_delay_alu instid0(VALU_DEP_1) | instskip(NEXT) | instid1(VALU_DEP_2)
	v_add_co_ci_u32_e64 v20, s3, 0, v20, s3
	v_add_co_u32 v21, s3, 0, v19
	s_delay_alu instid0(VALU_DEP_1) | instskip(NEXT) | instid1(VALU_DEP_1)
	v_add_co_ci_u32_e64 v22, s3, v26, v20, s3
	v_mov_b32_e32 v20, v22
; %bb.80:
	s_or_b32 exec_lo, exec_lo, s9
	v_mov_b32_dpp v27, v19 row_shr:2 row_mask:0xf bank_mask:0xf
	s_delay_alu instid0(VALU_DEP_2)
	v_mov_b32_dpp v26, v20 row_shr:2 row_mask:0xf bank_mask:0xf
	s_mov_b32 s9, exec_lo
	v_cmpx_lt_u32_e32 1, v25
; %bb.81:
	s_delay_alu instid0(VALU_DEP_3) | instskip(NEXT) | instid1(VALU_DEP_1)
	v_add_co_u32 v19, s3, v21, v27
	v_add_co_ci_u32_e64 v20, s3, 0, v22, s3
	s_delay_alu instid0(VALU_DEP_2) | instskip(NEXT) | instid1(VALU_DEP_1)
	v_add_co_u32 v21, s3, 0, v19
	v_add_co_ci_u32_e64 v22, s3, v26, v20, s3
	s_delay_alu instid0(VALU_DEP_1)
	v_mov_b32_e32 v20, v22
; %bb.82:
	s_or_b32 exec_lo, exec_lo, s9
	v_mov_b32_dpp v27, v19 row_shr:4 row_mask:0xf bank_mask:0xf
	s_delay_alu instid0(VALU_DEP_2)
	v_mov_b32_dpp v26, v20 row_shr:4 row_mask:0xf bank_mask:0xf
	s_mov_b32 s9, exec_lo
	v_cmpx_lt_u32_e32 3, v25
; %bb.83:
	s_delay_alu instid0(VALU_DEP_3) | instskip(NEXT) | instid1(VALU_DEP_1)
	v_add_co_u32 v19, s3, v21, v27
	v_add_co_ci_u32_e64 v20, s3, 0, v22, s3
	s_delay_alu instid0(VALU_DEP_2) | instskip(NEXT) | instid1(VALU_DEP_1)
	v_add_co_u32 v21, s3, 0, v19
	v_add_co_ci_u32_e64 v22, s3, v26, v20, s3
	s_delay_alu instid0(VALU_DEP_1)
	;; [unrolled: 16-line block ×3, first 2 shown]
	v_mov_b32_e32 v20, v22
; %bb.86:
	s_or_b32 exec_lo, exec_lo, s9
	ds_swizzle_b32 v25, v19 offset:swizzle(BROADCAST,32,15)
	ds_swizzle_b32 v26, v20 offset:swizzle(BROADCAST,32,15)
	v_add_nc_u32_e32 v27, -1, v24
	v_and_b32_e32 v28, 16, v24
	s_delay_alu instid0(VALU_DEP_2) | instskip(NEXT) | instid1(VALU_DEP_1)
	v_cmp_gt_i32_e64 s3, 0, v27
	v_cndmask_b32_e64 v24, v27, v24, s3
	s_delay_alu instid0(VALU_DEP_1) | instskip(SKIP_2) | instid1(VALU_DEP_1)
	v_lshlrev_b32_e32 v24, 2, v24
	s_waitcnt lgkmcnt(1)
	v_add_co_u32 v21, s3, v21, v25
	v_add_co_ci_u32_e64 v22, s3, 0, v22, s3
	v_cmp_eq_u32_e64 s3, 0, v28
	s_delay_alu instid0(VALU_DEP_1) | instskip(SKIP_1) | instid1(VALU_DEP_3)
	v_cndmask_b32_e64 v19, v21, v19, s3
	s_waitcnt lgkmcnt(0)
	v_add_nc_u32_e32 v21, v26, v22
	ds_bpermute_b32 v19, v24, v19
	v_cndmask_b32_e64 v20, v21, v20, s3
	ds_bpermute_b32 v20, v24, v20
	s_waitcnt lgkmcnt(1)
	v_add_co_u32 v1, s3, v1, v19
	s_delay_alu instid0(VALU_DEP_1) | instskip(NEXT) | instid1(VALU_DEP_2)
	v_add_co_ci_u32_e64 v2, s3, 0, v2, s3
	v_add_co_u32 v1, s3, v1, 0
	s_waitcnt lgkmcnt(0)
	s_delay_alu instid0(VALU_DEP_2) | instskip(NEXT) | instid1(VALU_DEP_1)
	v_add_co_ci_u32_e64 v2, s3, v2, v20, s3
	v_dual_cndmask_b32 v1, v1, v17 :: v_dual_cndmask_b32 v2, v2, v18
	s_delay_alu instid0(VALU_DEP_1) | instskip(NEXT) | instid1(VALU_DEP_1)
	v_add_co_u32 v3, s3, v1, v3
	v_add_co_ci_u32_e64 v4, s3, v2, v4, s3
	s_delay_alu instid0(VALU_DEP_2) | instskip(NEXT) | instid1(VALU_DEP_1)
	v_add_co_u32 v5, s3, v3, v5
	v_add_co_ci_u32_e64 v6, s3, v4, v6, s3
	s_delay_alu instid0(VALU_DEP_2) | instskip(NEXT) | instid1(VALU_DEP_1)
	;; [unrolled: 3-line block ×6, first 2 shown]
	v_add_co_u32 v15, s3, v13, v15
	v_add_co_ci_u32_e64 v16, s3, v14, v16, s3
	ds_store_2addr_b64 v23, v[1:2], v[3:4] offset1:1
	ds_store_2addr_b64 v23, v[5:6], v[7:8] offset0:2 offset1:3
	ds_store_2addr_b64 v23, v[9:10], v[11:12] offset0:4 offset1:5
	;; [unrolled: 1-line block ×3, first 2 shown]
.LBB9_87:
	s_or_b32 exec_lo, exec_lo, s8
	v_mov_b32_e32 v1, 0
	v_mov_b32_e32 v2, 0
	s_waitcnt lgkmcnt(0)
	s_barrier
	buffer_gl0_inv
	s_and_saveexec_b32 s3, s2
	s_cbranch_execz .LBB9_89
; %bb.88:
	v_add_nc_u32_e32 v1, -1, v0
	s_delay_alu instid0(VALU_DEP_1) | instskip(NEXT) | instid1(VALU_DEP_1)
	v_lshrrev_b32_e32 v2, 5, v1
	v_add_lshl_u32 v1, v2, v1, 3
	ds_load_b64 v[1:2], v1
.LBB9_89:
	s_or_b32 exec_lo, exec_lo, s3
	s_waitcnt lgkmcnt(0)
	v_add_co_u32 v1, s2, v1, v57
	s_delay_alu instid0(VALU_DEP_1) | instskip(NEXT) | instid1(VALU_DEP_2)
	v_add_co_ci_u32_e64 v2, s2, v2, v58, s2
	v_add_co_u32 v3, s2, v1, v59
	s_delay_alu instid0(VALU_DEP_1) | instskip(NEXT) | instid1(VALU_DEP_2)
	v_add_co_ci_u32_e64 v4, s2, v2, v60, s2
	;; [unrolled: 3-line block ×15, first 2 shown]
	v_add_co_u32 v31, s2, v29, v35
	s_delay_alu instid0(VALU_DEP_1)
	v_add_co_ci_u32_e64 v32, s2, v30, v36, s2
	s_and_saveexec_b32 s2, vcc_lo
	s_cbranch_execz .LBB9_91
; %bb.90:
	v_dual_mov_b32 v36, 0 :: v_dual_mov_b32 v35, 2
	s_add_u32 s4, s4, 0x200
	s_addc_u32 s5, s5, 0
	s_delay_alu instid0(SALU_CYCLE_1)
	v_dual_mov_b32 v38, s5 :: v_dual_mov_b32 v37, s4
	ds_load_b64 v[33:34], v36 offset:2096
	s_waitcnt lgkmcnt(0)
	;;#ASMSTART
	global_store_dwordx4 v[37:38], v[33:36] off	
s_waitcnt vmcnt(0)
	;;#ASMEND
.LBB9_91:
	s_or_b32 exec_lo, exec_lo, s2
.LBB9_92:
	v_lshlrev_b32_e32 v33, 7, v0
	s_add_u32 s2, s6, s12
	s_addc_u32 s3, s7, s13
	s_and_b32 vcc_lo, exec_lo, s17
	s_mov_b32 s4, -1
	s_waitcnt lgkmcnt(0)
	s_barrier
	buffer_gl0_inv
	s_cbranch_vccz .LBB9_94
; %bb.93:
	v_lshl_add_u32 v34, v82, 3, v33
	v_lshrrev_b32_e32 v35, 5, v78
	v_lshrrev_b32_e32 v36, 5, v77
	v_add_lshl_u32 v37, v81, v0, 3
	v_lshrrev_b32_e32 v51, 5, v71
	ds_store_2addr_b64 v34, v[1:2], v[3:4] offset1:1
	ds_store_2addr_b64 v34, v[5:6], v[7:8] offset0:2 offset1:3
	ds_store_2addr_b64 v34, v[9:10], v[11:12] offset0:4 offset1:5
	;; [unrolled: 1-line block ×7, first 2 shown]
	v_lshrrev_b32_e32 v34, 5, v79
	v_add_lshl_u32 v39, v35, v0, 3
	v_add_lshl_u32 v40, v36, v0, 3
	s_waitcnt lgkmcnt(0)
	s_barrier
	v_add_lshl_u32 v38, v34, v0, 3
	buffer_gl0_inv
	v_lshrrev_b32_e32 v52, 5, v70
	ds_load_b64 v[34:35], v37
	ds_load_b64 v[36:37], v38 offset:2048
	ds_load_b64 v[38:39], v39 offset:4096
	;; [unrolled: 1-line block ×3, first 2 shown]
	v_lshrrev_b32_e32 v42, 5, v76
	v_lshrrev_b32_e32 v50, 5, v72
	;; [unrolled: 1-line block ×5, first 2 shown]
	v_add_lshl_u32 v53, v51, v0, 3
	v_lshrrev_b32_e32 v51, 5, v69
	v_add_lshl_u32 v54, v52, v0, 3
	v_lshrrev_b32_e32 v52, 5, v68
	v_lshrrev_b32_e32 v55, 5, v67
	;; [unrolled: 1-line block ×4, first 2 shown]
	v_add_lshl_u32 v42, v42, v0, 3
	v_add_lshl_u32 v50, v50, v0, 3
	;; [unrolled: 1-line block ×10, first 2 shown]
	ds_load_b64 v[42:43], v42 offset:8192
	ds_load_b64 v[44:45], v46 offset:10240
	;; [unrolled: 1-line block ×12, first 2 shown]
	v_add_co_u32 v64, s5, s2, v80
	s_delay_alu instid0(VALU_DEP_1)
	v_add_co_ci_u32_e64 v95, null, s3, 0, s5
	s_waitcnt lgkmcnt(14)
	global_store_b64 v80, v[36:37], s[2:3] offset:2048
	v_add_co_u32 v36, vcc_lo, 0x1000, v64
	v_add_co_ci_u32_e32 v37, vcc_lo, 0, v95, vcc_lo
	v_add_co_u32 v85, vcc_lo, v64, 0x2000
	v_add_co_ci_u32_e32 v86, vcc_lo, 0, v95, vcc_lo
	;; [unrolled: 2-line block ×6, first 2 shown]
	s_waitcnt lgkmcnt(13)
	global_store_b64 v[85:86], v[38:39], off offset:-4096
	s_waitcnt lgkmcnt(11)
	global_store_b64 v[85:86], v[42:43], off
	s_waitcnt lgkmcnt(9)
	global_store_b64 v[91:92], v[46:47], off offset:-4096
	s_waitcnt lgkmcnt(7)
	s_clause 0x3
	global_store_b64 v[91:92], v[50:51], off
	global_store_b64 v[36:37], v[40:41], off offset:2048
	global_store_b64 v[87:88], v[44:45], off offset:2048
	;; [unrolled: 1-line block ×3, first 2 shown]
	s_waitcnt lgkmcnt(6)
	global_store_b64 v[93:94], v[52:53], off offset:2048
	v_add_co_u32 v36, vcc_lo, v64, 0x6000
	v_add_co_ci_u32_e32 v37, vcc_lo, 0, v95, vcc_lo
	v_add_co_u32 v38, vcc_lo, 0x5000, v64
	v_add_co_ci_u32_e32 v39, vcc_lo, 0, v95, vcc_lo
	;; [unrolled: 2-line block ×4, first 2 shown]
	s_mov_b32 s4, 0
	s_waitcnt lgkmcnt(5)
	s_clause 0x1
	global_store_b64 v[36:37], v[54:55], off offset:-4096
	global_store_b64 v80, v[34:35], s[2:3]
	s_waitcnt lgkmcnt(3)
	s_clause 0x1
	global_store_b64 v[36:37], v[58:59], off
	global_store_b64 v[38:39], v[56:57], off offset:2048
	s_waitcnt lgkmcnt(2)
	global_store_b64 v[40:41], v[60:61], off offset:2048
	s_waitcnt lgkmcnt(1)
	global_store_b64 v[42:43], v[62:63], off
	s_waitcnt lgkmcnt(0)
	global_store_b64 v[42:43], v[83:84], off offset:2048
.LBB9_94:
	s_and_not1_b32 vcc_lo, exec_lo, s4
	s_cbranch_vccnz .LBB9_167
; %bb.95:
	v_lshl_add_u32 v33, v82, 3, v33
	v_add_co_u32 v34, s2, s2, v80
	s_delay_alu instid0(VALU_DEP_1)
	v_add_co_ci_u32_e64 v35, null, s3, 0, s2
	ds_store_2addr_b64 v33, v[1:2], v[3:4] offset1:1
	ds_store_2addr_b64 v33, v[5:6], v[7:8] offset0:2 offset1:3
	ds_store_2addr_b64 v33, v[9:10], v[11:12] offset0:4 offset1:5
	;; [unrolled: 1-line block ×7, first 2 shown]
	v_lshrrev_b32_e32 v1, 5, v79
	v_lshrrev_b32_e32 v2, 5, v78
	;; [unrolled: 1-line block ×3, first 2 shown]
	v_add_lshl_u32 v4, v81, v0, 3
	v_lshrrev_b32_e32 v10, 5, v76
	v_add_lshl_u32 v1, v1, v0, 3
	v_lshrrev_b32_e32 v11, 5, v75
	;; [unrolled: 2-line block ×4, first 2 shown]
	s_waitcnt lgkmcnt(0)
	s_waitcnt_vscnt null, 0x0
	s_barrier
	buffer_gl0_inv
	ds_load_b64 v[4:5], v4
	ds_load_b64 v[2:3], v1 offset:2048
	ds_load_b64 v[6:7], v6 offset:4096
	;; [unrolled: 1-line block ×3, first 2 shown]
	v_add_lshl_u32 v1, v10, v0, 3
	v_lshrrev_b32_e32 v18, 5, v72
	v_add_lshl_u32 v14, v11, v0, 3
	v_lshrrev_b32_e32 v19, 5, v71
	v_lshrrev_b32_e32 v20, 5, v70
	v_add_lshl_u32 v15, v12, v0, 3
	v_add_lshl_u32 v16, v13, v0, 3
	ds_load_b64 v[10:11], v1 offset:8192
	ds_load_b64 v[12:13], v14 offset:10240
	;; [unrolled: 1-line block ×4, first 2 shown]
	v_add_lshl_u32 v1, v18, v0, 3
	v_lshrrev_b32_e32 v18, 5, v69
	v_add_lshl_u32 v21, v19, v0, 3
	v_add_lshl_u32 v22, v20, v0, 3
	v_lshrrev_b32_e32 v19, 5, v68
	v_lshrrev_b32_e32 v20, 5, v67
	;; [unrolled: 1-line block ×4, first 2 shown]
	v_add_lshl_u32 v25, v18, v0, 3
	v_add_lshl_u32 v26, v19, v0, 3
	;; [unrolled: 1-line block ×5, first 2 shown]
	ds_load_b64 v[18:19], v1 offset:16384
	ds_load_b64 v[20:21], v21 offset:18432
	ds_load_b64 v[22:23], v22 offset:20480
	ds_load_b64 v[24:25], v25 offset:22528
	ds_load_b64 v[26:27], v26 offset:24576
	ds_load_b64 v[28:29], v28 offset:26624
	ds_load_b64 v[30:31], v30 offset:28672
	ds_load_b64 v[32:33], v32 offset:30720
	v_mov_b32_e32 v1, 0
	s_mov_b32 s2, exec_lo
	v_cmpx_gt_u32_e64 s14, v0
	s_cbranch_execnz .LBB9_183
; %bb.96:
	s_or_b32 exec_lo, exec_lo, s2
	s_delay_alu instid0(SALU_CYCLE_1)
	s_mov_b32 s2, exec_lo
	v_cmpx_gt_u32_e64 s14, v79
	s_cbranch_execnz .LBB9_184
.LBB9_97:
	s_or_b32 exec_lo, exec_lo, s2
	s_delay_alu instid0(SALU_CYCLE_1)
	s_mov_b32 s2, exec_lo
	v_cmpx_gt_u32_e64 s14, v78
	s_cbranch_execnz .LBB9_185
.LBB9_98:
	s_or_b32 exec_lo, exec_lo, s2
	s_delay_alu instid0(SALU_CYCLE_1)
	s_mov_b32 s2, exec_lo
	v_cmpx_gt_u32_e64 s14, v77
	s_cbranch_execnz .LBB9_186
.LBB9_99:
	s_or_b32 exec_lo, exec_lo, s2
	s_delay_alu instid0(SALU_CYCLE_1)
	s_mov_b32 s2, exec_lo
	v_cmpx_gt_u32_e64 s14, v76
	s_cbranch_execnz .LBB9_187
.LBB9_100:
	s_or_b32 exec_lo, exec_lo, s2
	s_delay_alu instid0(SALU_CYCLE_1)
	s_mov_b32 s2, exec_lo
	v_cmpx_gt_u32_e64 s14, v75
	s_cbranch_execnz .LBB9_188
.LBB9_101:
	s_or_b32 exec_lo, exec_lo, s2
	s_delay_alu instid0(SALU_CYCLE_1)
	s_mov_b32 s2, exec_lo
	v_cmpx_gt_u32_e64 s14, v74
	s_cbranch_execnz .LBB9_189
.LBB9_102:
	s_or_b32 exec_lo, exec_lo, s2
	s_delay_alu instid0(SALU_CYCLE_1)
	s_mov_b32 s2, exec_lo
	v_cmpx_gt_u32_e64 s14, v73
	s_cbranch_execnz .LBB9_190
.LBB9_103:
	s_or_b32 exec_lo, exec_lo, s2
	s_delay_alu instid0(SALU_CYCLE_1)
	s_mov_b32 s2, exec_lo
	v_cmpx_gt_u32_e64 s14, v72
	s_cbranch_execnz .LBB9_191
.LBB9_104:
	s_or_b32 exec_lo, exec_lo, s2
	s_delay_alu instid0(SALU_CYCLE_1)
	s_mov_b32 s2, exec_lo
	v_cmpx_gt_u32_e64 s14, v71
	s_cbranch_execnz .LBB9_192
.LBB9_105:
	s_or_b32 exec_lo, exec_lo, s2
	s_delay_alu instid0(SALU_CYCLE_1)
	s_mov_b32 s2, exec_lo
	v_cmpx_gt_u32_e64 s14, v70
	s_cbranch_execnz .LBB9_193
.LBB9_106:
	s_or_b32 exec_lo, exec_lo, s2
	s_delay_alu instid0(SALU_CYCLE_1)
	s_mov_b32 s2, exec_lo
	v_cmpx_gt_u32_e64 s14, v69
	s_cbranch_execnz .LBB9_194
.LBB9_107:
	s_or_b32 exec_lo, exec_lo, s2
	s_delay_alu instid0(SALU_CYCLE_1)
	s_mov_b32 s2, exec_lo
	v_cmpx_gt_u32_e64 s14, v68
	s_cbranch_execnz .LBB9_195
.LBB9_108:
	s_or_b32 exec_lo, exec_lo, s2
	s_delay_alu instid0(SALU_CYCLE_1)
	s_mov_b32 s2, exec_lo
	v_cmpx_gt_u32_e64 s14, v67
	s_cbranch_execnz .LBB9_196
.LBB9_109:
	s_or_b32 exec_lo, exec_lo, s2
	s_delay_alu instid0(SALU_CYCLE_1)
	s_mov_b32 s2, exec_lo
	v_cmpx_gt_u32_e64 s14, v66
	s_cbranch_execnz .LBB9_197
.LBB9_110:
	s_or_b32 exec_lo, exec_lo, s2
	s_delay_alu instid0(SALU_CYCLE_1)
	s_mov_b32 s2, exec_lo
	v_cmpx_gt_u32_e64 s14, v65
	s_cbranch_execz .LBB9_112
.LBB9_111:
	v_add_co_u32 v34, vcc_lo, 0x7000, v34
	v_add_co_ci_u32_e32 v35, vcc_lo, 0, v35, vcc_lo
	s_waitcnt lgkmcnt(0)
	global_store_b64 v[34:35], v[32:33], off offset:2048
.LBB9_112:
	s_or_b32 exec_lo, exec_lo, s2
	s_load_b32 s0, s[0:1], 0x48
	s_waitcnt lgkmcnt(0)
	s_bfe_u32 s0, s0, 0x10008
	s_delay_alu instid0(SALU_CYCLE_1)
	s_cmp_eq_u32 s0, 0
	s_cbranch_scc1 .LBB9_167
; %bb.113:
	s_add_u32 s0, s14, -1
	s_addc_u32 s1, s16, -1
	s_delay_alu instid0(SALU_CYCLE_1)
	s_lshr_b64 s[2:3], s[0:1], 4
	s_mov_b32 s1, exec_lo
	v_cmpx_eq_u64_e64 s[2:3], v[0:1]
	s_cbranch_execz .LBB9_167
; %bb.114:
	s_and_b32 s0, s0, 15
	s_mov_b32 s1, 0
	s_delay_alu instid0(SALU_CYCLE_1) | instskip(NEXT) | instid1(VALU_DEP_1)
	v_cmp_lt_i64_e64 s2, s[0:1], 8
	s_and_b32 vcc_lo, exec_lo, s2
	s_mov_b32 s2, -1
	s_cbranch_vccnz .LBB9_141
; %bb.115:
	v_cmp_lt_i64_e64 s2, s[0:1], 12
	s_delay_alu instid0(VALU_DEP_1)
	s_and_b32 vcc_lo, exec_lo, s2
	s_mov_b32 s2, -1
	s_cbranch_vccnz .LBB9_128
; %bb.116:
	v_cmp_lt_i64_e64 s2, s[0:1], 14
	s_delay_alu instid0(VALU_DEP_1)
	s_and_b32 vcc_lo, exec_lo, s2
	s_mov_b32 s2, -1
	s_cbranch_vccnz .LBB9_122
; %bb.117:
	v_cmp_gt_i64_e64 s2, s[0:1], 14
	s_delay_alu instid0(VALU_DEP_1)
	s_and_b32 vcc_lo, exec_lo, s2
	s_mov_b32 s2, -1
	s_cbranch_vccz .LBB9_119
; %bb.118:
	v_mov_b32_e32 v0, 0
	s_mov_b32 s2, 0
	global_store_b64 v0, v[32:33], s[10:11]
.LBB9_119:
	s_and_not1_b32 vcc_lo, exec_lo, s2
	s_cbranch_vccnz .LBB9_121
; %bb.120:
	v_mov_b32_e32 v0, 0
	global_store_b64 v0, v[30:31], s[10:11]
.LBB9_121:
	s_mov_b32 s2, 0
.LBB9_122:
	s_delay_alu instid0(SALU_CYCLE_1)
	s_and_not1_b32 vcc_lo, exec_lo, s2
	s_cbranch_vccnz .LBB9_127
; %bb.123:
	v_cmp_gt_i64_e64 s2, s[0:1], 12
	s_delay_alu instid0(VALU_DEP_1)
	s_and_b32 vcc_lo, exec_lo, s2
	s_mov_b32 s2, -1
	s_cbranch_vccz .LBB9_125
; %bb.124:
	v_mov_b32_e32 v0, 0
	s_mov_b32 s2, 0
	global_store_b64 v0, v[28:29], s[10:11]
.LBB9_125:
	s_and_not1_b32 vcc_lo, exec_lo, s2
	s_cbranch_vccnz .LBB9_127
; %bb.126:
	v_mov_b32_e32 v0, 0
	global_store_b64 v0, v[26:27], s[10:11]
.LBB9_127:
	s_mov_b32 s2, 0
.LBB9_128:
	s_delay_alu instid0(SALU_CYCLE_1)
	s_and_not1_b32 vcc_lo, exec_lo, s2
	s_cbranch_vccnz .LBB9_140
; %bb.129:
	v_cmp_lt_i64_e64 s2, s[0:1], 10
	s_delay_alu instid0(VALU_DEP_1)
	s_and_b32 vcc_lo, exec_lo, s2
	s_mov_b32 s2, -1
	s_cbranch_vccnz .LBB9_135
; %bb.130:
	v_cmp_gt_i64_e64 s2, s[0:1], 10
	s_delay_alu instid0(VALU_DEP_1)
	s_and_b32 vcc_lo, exec_lo, s2
	s_mov_b32 s2, -1
	s_cbranch_vccz .LBB9_132
; %bb.131:
	v_mov_b32_e32 v0, 0
	s_mov_b32 s2, 0
	global_store_b64 v0, v[24:25], s[10:11]
.LBB9_132:
	s_and_not1_b32 vcc_lo, exec_lo, s2
	s_cbranch_vccnz .LBB9_134
; %bb.133:
	v_mov_b32_e32 v0, 0
	global_store_b64 v0, v[22:23], s[10:11]
.LBB9_134:
	s_mov_b32 s2, 0
.LBB9_135:
	s_delay_alu instid0(SALU_CYCLE_1)
	s_and_not1_b32 vcc_lo, exec_lo, s2
	s_cbranch_vccnz .LBB9_140
; %bb.136:
	v_cmp_gt_i64_e64 s2, s[0:1], 8
	s_delay_alu instid0(VALU_DEP_1)
	s_and_b32 vcc_lo, exec_lo, s2
	s_mov_b32 s2, -1
	s_cbranch_vccz .LBB9_138
; %bb.137:
	v_mov_b32_e32 v0, 0
	s_mov_b32 s2, 0
	global_store_b64 v0, v[20:21], s[10:11]
.LBB9_138:
	s_and_not1_b32 vcc_lo, exec_lo, s2
	s_cbranch_vccnz .LBB9_140
; %bb.139:
	v_mov_b32_e32 v0, 0
	global_store_b64 v0, v[18:19], s[10:11]
.LBB9_140:
	s_mov_b32 s2, 0
.LBB9_141:
	s_delay_alu instid0(SALU_CYCLE_1)
	s_and_not1_b32 vcc_lo, exec_lo, s2
	s_cbranch_vccnz .LBB9_167
; %bb.142:
	v_cmp_lt_i64_e64 s2, s[0:1], 4
	s_delay_alu instid0(VALU_DEP_1)
	s_and_b32 vcc_lo, exec_lo, s2
	s_mov_b32 s2, -1
	s_cbranch_vccnz .LBB9_155
; %bb.143:
	v_cmp_lt_i64_e64 s2, s[0:1], 6
	s_delay_alu instid0(VALU_DEP_1)
	s_and_b32 vcc_lo, exec_lo, s2
	s_mov_b32 s2, -1
	s_cbranch_vccnz .LBB9_149
; %bb.144:
	v_cmp_gt_i64_e64 s2, s[0:1], 6
	s_delay_alu instid0(VALU_DEP_1)
	s_and_b32 vcc_lo, exec_lo, s2
	s_mov_b32 s2, -1
	s_cbranch_vccz .LBB9_146
; %bb.145:
	v_mov_b32_e32 v0, 0
	s_mov_b32 s2, 0
	global_store_b64 v0, v[16:17], s[10:11]
.LBB9_146:
	s_and_not1_b32 vcc_lo, exec_lo, s2
	s_cbranch_vccnz .LBB9_148
; %bb.147:
	v_mov_b32_e32 v0, 0
	global_store_b64 v0, v[14:15], s[10:11]
.LBB9_148:
	s_mov_b32 s2, 0
.LBB9_149:
	s_delay_alu instid0(SALU_CYCLE_1)
	s_and_not1_b32 vcc_lo, exec_lo, s2
	s_cbranch_vccnz .LBB9_154
; %bb.150:
	v_cmp_gt_i64_e64 s2, s[0:1], 4
	s_delay_alu instid0(VALU_DEP_1)
	s_and_b32 vcc_lo, exec_lo, s2
	s_mov_b32 s2, -1
	s_cbranch_vccz .LBB9_152
; %bb.151:
	v_mov_b32_e32 v0, 0
	s_mov_b32 s2, 0
	global_store_b64 v0, v[12:13], s[10:11]
.LBB9_152:
	s_and_not1_b32 vcc_lo, exec_lo, s2
	s_cbranch_vccnz .LBB9_154
; %bb.153:
	v_mov_b32_e32 v0, 0
	global_store_b64 v0, v[10:11], s[10:11]
.LBB9_154:
	s_mov_b32 s2, 0
.LBB9_155:
	s_delay_alu instid0(SALU_CYCLE_1)
	s_and_not1_b32 vcc_lo, exec_lo, s2
	s_cbranch_vccnz .LBB9_167
; %bb.156:
	v_cmp_lt_i64_e64 s2, s[0:1], 2
	s_delay_alu instid0(VALU_DEP_1)
	s_and_b32 vcc_lo, exec_lo, s2
	s_mov_b32 s2, -1
	s_cbranch_vccnz .LBB9_162
; %bb.157:
	v_cmp_gt_i64_e64 s2, s[0:1], 2
	s_delay_alu instid0(VALU_DEP_1)
	s_and_b32 vcc_lo, exec_lo, s2
	s_mov_b32 s2, -1
	s_cbranch_vccz .LBB9_159
; %bb.158:
	v_mov_b32_e32 v0, 0
	s_mov_b32 s2, 0
	global_store_b64 v0, v[8:9], s[10:11]
.LBB9_159:
	s_and_not1_b32 vcc_lo, exec_lo, s2
	s_cbranch_vccnz .LBB9_161
; %bb.160:
	v_mov_b32_e32 v0, 0
	global_store_b64 v0, v[6:7], s[10:11]
.LBB9_161:
	s_mov_b32 s2, 0
.LBB9_162:
	s_delay_alu instid0(SALU_CYCLE_1)
	s_and_not1_b32 vcc_lo, exec_lo, s2
	s_cbranch_vccnz .LBB9_167
; %bb.163:
	s_cmp_eq_u64 s[0:1], 1
	s_mov_b32 s0, -1
	s_cbranch_scc1 .LBB9_165
; %bb.164:
	v_mov_b32_e32 v0, 0
	s_mov_b32 s0, 0
	global_store_b64 v0, v[4:5], s[10:11]
.LBB9_165:
	s_and_not1_b32 vcc_lo, exec_lo, s0
	s_cbranch_vccnz .LBB9_167
; %bb.166:
	v_mov_b32_e32 v0, 0
	global_store_b64 v0, v[2:3], s[10:11]
.LBB9_167:
	s_nop 0
	s_sendmsg sendmsg(MSG_DEALLOC_VGPRS)
	s_endpgm
.LBB9_168:
	global_load_b64 v[33:34], v[35:36], off
	v_dual_mov_b32 v1, s36 :: v_dual_mov_b32 v2, s37
	v_dual_mov_b32 v3, s38 :: v_dual_mov_b32 v4, s39
	;; [unrolled: 1-line block ×16, first 2 shown]
	s_or_b32 exec_lo, exec_lo, s3
	s_delay_alu instid0(SALU_CYCLE_1)
	s_mov_b32 s2, exec_lo
	v_cmpx_gt_u32_e64 s14, v79
	s_cbranch_execz .LBB9_5
.LBB9_169:
	global_load_b64 v[3:4], v[35:36], off offset:2048
	s_or_b32 exec_lo, exec_lo, s2
	s_delay_alu instid0(SALU_CYCLE_1)
	s_mov_b32 s2, exec_lo
	v_cmpx_gt_u32_e64 s14, v78
	s_cbranch_execz .LBB9_6
.LBB9_170:
	v_add_co_u32 v1, vcc_lo, 0x1000, v35
	v_add_co_ci_u32_e32 v2, vcc_lo, 0, v36, vcc_lo
	global_load_b64 v[5:6], v[1:2], off
	s_or_b32 exec_lo, exec_lo, s2
	s_delay_alu instid0(SALU_CYCLE_1)
	s_mov_b32 s2, exec_lo
	v_cmpx_gt_u32_e64 s14, v77
	s_cbranch_execz .LBB9_7
.LBB9_171:
	v_add_co_u32 v1, vcc_lo, 0x1000, v35
	v_add_co_ci_u32_e32 v2, vcc_lo, 0, v36, vcc_lo
	global_load_b64 v[7:8], v[1:2], off offset:2048
	s_or_b32 exec_lo, exec_lo, s2
	s_delay_alu instid0(SALU_CYCLE_1)
	s_mov_b32 s2, exec_lo
	v_cmpx_gt_u32_e64 s14, v76
	s_cbranch_execz .LBB9_8
.LBB9_172:
	v_add_co_u32 v1, vcc_lo, 0x2000, v35
	v_add_co_ci_u32_e32 v2, vcc_lo, 0, v36, vcc_lo
	global_load_b64 v[9:10], v[1:2], off
	s_or_b32 exec_lo, exec_lo, s2
	s_delay_alu instid0(SALU_CYCLE_1)
	s_mov_b32 s2, exec_lo
	v_cmpx_gt_u32_e64 s14, v75
	s_cbranch_execz .LBB9_9
.LBB9_173:
	v_add_co_u32 v1, vcc_lo, 0x2000, v35
	v_add_co_ci_u32_e32 v2, vcc_lo, 0, v36, vcc_lo
	global_load_b64 v[11:12], v[1:2], off offset:2048
	s_or_b32 exec_lo, exec_lo, s2
	s_delay_alu instid0(SALU_CYCLE_1)
	s_mov_b32 s2, exec_lo
	v_cmpx_gt_u32_e64 s14, v74
	s_cbranch_execz .LBB9_10
.LBB9_174:
	v_add_co_u32 v1, vcc_lo, 0x3000, v35
	v_add_co_ci_u32_e32 v2, vcc_lo, 0, v36, vcc_lo
	global_load_b64 v[13:14], v[1:2], off
	s_or_b32 exec_lo, exec_lo, s2
	s_delay_alu instid0(SALU_CYCLE_1)
	s_mov_b32 s2, exec_lo
	v_cmpx_gt_u32_e64 s14, v73
	s_cbranch_execz .LBB9_11
.LBB9_175:
	v_add_co_u32 v1, vcc_lo, 0x3000, v35
	v_add_co_ci_u32_e32 v2, vcc_lo, 0, v36, vcc_lo
	global_load_b64 v[15:16], v[1:2], off offset:2048
	s_or_b32 exec_lo, exec_lo, s2
	s_delay_alu instid0(SALU_CYCLE_1)
	s_mov_b32 s2, exec_lo
	v_cmpx_gt_u32_e64 s14, v72
	s_cbranch_execz .LBB9_12
.LBB9_176:
	v_add_co_u32 v1, vcc_lo, 0x4000, v35
	v_add_co_ci_u32_e32 v2, vcc_lo, 0, v36, vcc_lo
	global_load_b64 v[17:18], v[1:2], off
	s_or_b32 exec_lo, exec_lo, s2
	s_delay_alu instid0(SALU_CYCLE_1)
	s_mov_b32 s2, exec_lo
	v_cmpx_gt_u32_e64 s14, v71
	s_cbranch_execz .LBB9_13
.LBB9_177:
	v_add_co_u32 v1, vcc_lo, 0x4000, v35
	v_add_co_ci_u32_e32 v2, vcc_lo, 0, v36, vcc_lo
	global_load_b64 v[19:20], v[1:2], off offset:2048
	s_or_b32 exec_lo, exec_lo, s2
	s_delay_alu instid0(SALU_CYCLE_1)
	s_mov_b32 s2, exec_lo
	v_cmpx_gt_u32_e64 s14, v70
	s_cbranch_execz .LBB9_14
.LBB9_178:
	v_add_co_u32 v1, vcc_lo, 0x5000, v35
	v_add_co_ci_u32_e32 v2, vcc_lo, 0, v36, vcc_lo
	global_load_b64 v[21:22], v[1:2], off
	s_or_b32 exec_lo, exec_lo, s2
	s_delay_alu instid0(SALU_CYCLE_1)
	s_mov_b32 s2, exec_lo
	v_cmpx_gt_u32_e64 s14, v69
	s_cbranch_execz .LBB9_15
.LBB9_179:
	v_add_co_u32 v1, vcc_lo, 0x5000, v35
	v_add_co_ci_u32_e32 v2, vcc_lo, 0, v36, vcc_lo
	global_load_b64 v[23:24], v[1:2], off offset:2048
	s_or_b32 exec_lo, exec_lo, s2
	s_delay_alu instid0(SALU_CYCLE_1)
	s_mov_b32 s2, exec_lo
	v_cmpx_gt_u32_e64 s14, v68
	s_cbranch_execz .LBB9_16
.LBB9_180:
	v_add_co_u32 v1, vcc_lo, 0x6000, v35
	v_add_co_ci_u32_e32 v2, vcc_lo, 0, v36, vcc_lo
	global_load_b64 v[25:26], v[1:2], off
	s_or_b32 exec_lo, exec_lo, s2
	s_delay_alu instid0(SALU_CYCLE_1)
	s_mov_b32 s2, exec_lo
	v_cmpx_gt_u32_e64 s14, v67
	s_cbranch_execz .LBB9_17
.LBB9_181:
	v_add_co_u32 v1, vcc_lo, 0x6000, v35
	v_add_co_ci_u32_e32 v2, vcc_lo, 0, v36, vcc_lo
	global_load_b64 v[27:28], v[1:2], off offset:2048
	s_or_b32 exec_lo, exec_lo, s2
	s_delay_alu instid0(SALU_CYCLE_1)
	s_mov_b32 s2, exec_lo
	v_cmpx_gt_u32_e64 s14, v66
	s_cbranch_execz .LBB9_18
.LBB9_182:
	v_add_co_u32 v1, vcc_lo, 0x7000, v35
	v_add_co_ci_u32_e32 v2, vcc_lo, 0, v36, vcc_lo
	global_load_b64 v[29:30], v[1:2], off
	s_or_b32 exec_lo, exec_lo, s2
	s_delay_alu instid0(SALU_CYCLE_1)
	s_mov_b32 s2, exec_lo
	v_cmpx_gt_u32_e64 s14, v65
	s_cbranch_execnz .LBB9_19
	s_branch .LBB9_20
.LBB9_183:
	s_waitcnt lgkmcnt(15)
	global_store_b64 v[34:35], v[4:5], off
	s_or_b32 exec_lo, exec_lo, s2
	s_delay_alu instid0(SALU_CYCLE_1)
	s_mov_b32 s2, exec_lo
	v_cmpx_gt_u32_e64 s14, v79
	s_cbranch_execz .LBB9_97
.LBB9_184:
	s_waitcnt lgkmcnt(14)
	global_store_b64 v[34:35], v[2:3], off offset:2048
	s_or_b32 exec_lo, exec_lo, s2
	s_delay_alu instid0(SALU_CYCLE_1)
	s_mov_b32 s2, exec_lo
	v_cmpx_gt_u32_e64 s14, v78
	s_cbranch_execz .LBB9_98
.LBB9_185:
	v_add_co_u32 v36, vcc_lo, 0x1000, v34
	v_add_co_ci_u32_e32 v37, vcc_lo, 0, v35, vcc_lo
	s_waitcnt lgkmcnt(13)
	global_store_b64 v[36:37], v[6:7], off
	s_or_b32 exec_lo, exec_lo, s2
	s_delay_alu instid0(SALU_CYCLE_1)
	s_mov_b32 s2, exec_lo
	v_cmpx_gt_u32_e64 s14, v77
	s_cbranch_execz .LBB9_99
.LBB9_186:
	v_add_co_u32 v36, vcc_lo, 0x1000, v34
	v_add_co_ci_u32_e32 v37, vcc_lo, 0, v35, vcc_lo
	s_waitcnt lgkmcnt(12)
	global_store_b64 v[36:37], v[8:9], off offset:2048
	s_or_b32 exec_lo, exec_lo, s2
	s_delay_alu instid0(SALU_CYCLE_1)
	s_mov_b32 s2, exec_lo
	v_cmpx_gt_u32_e64 s14, v76
	s_cbranch_execz .LBB9_100
.LBB9_187:
	v_add_co_u32 v36, vcc_lo, 0x2000, v34
	v_add_co_ci_u32_e32 v37, vcc_lo, 0, v35, vcc_lo
	s_waitcnt lgkmcnt(11)
	global_store_b64 v[36:37], v[10:11], off
	s_or_b32 exec_lo, exec_lo, s2
	s_delay_alu instid0(SALU_CYCLE_1)
	s_mov_b32 s2, exec_lo
	v_cmpx_gt_u32_e64 s14, v75
	s_cbranch_execz .LBB9_101
.LBB9_188:
	v_add_co_u32 v36, vcc_lo, 0x2000, v34
	v_add_co_ci_u32_e32 v37, vcc_lo, 0, v35, vcc_lo
	s_waitcnt lgkmcnt(10)
	global_store_b64 v[36:37], v[12:13], off offset:2048
	s_or_b32 exec_lo, exec_lo, s2
	s_delay_alu instid0(SALU_CYCLE_1)
	s_mov_b32 s2, exec_lo
	v_cmpx_gt_u32_e64 s14, v74
	s_cbranch_execz .LBB9_102
.LBB9_189:
	v_add_co_u32 v36, vcc_lo, 0x3000, v34
	v_add_co_ci_u32_e32 v37, vcc_lo, 0, v35, vcc_lo
	s_waitcnt lgkmcnt(9)
	global_store_b64 v[36:37], v[14:15], off
	s_or_b32 exec_lo, exec_lo, s2
	s_delay_alu instid0(SALU_CYCLE_1)
	s_mov_b32 s2, exec_lo
	v_cmpx_gt_u32_e64 s14, v73
	s_cbranch_execz .LBB9_103
.LBB9_190:
	v_add_co_u32 v36, vcc_lo, 0x3000, v34
	v_add_co_ci_u32_e32 v37, vcc_lo, 0, v35, vcc_lo
	s_waitcnt lgkmcnt(8)
	global_store_b64 v[36:37], v[16:17], off offset:2048
	s_or_b32 exec_lo, exec_lo, s2
	s_delay_alu instid0(SALU_CYCLE_1)
	s_mov_b32 s2, exec_lo
	v_cmpx_gt_u32_e64 s14, v72
	s_cbranch_execz .LBB9_104
.LBB9_191:
	v_add_co_u32 v36, vcc_lo, 0x4000, v34
	v_add_co_ci_u32_e32 v37, vcc_lo, 0, v35, vcc_lo
	s_waitcnt lgkmcnt(7)
	global_store_b64 v[36:37], v[18:19], off
	s_or_b32 exec_lo, exec_lo, s2
	s_delay_alu instid0(SALU_CYCLE_1)
	s_mov_b32 s2, exec_lo
	v_cmpx_gt_u32_e64 s14, v71
	s_cbranch_execz .LBB9_105
.LBB9_192:
	v_add_co_u32 v36, vcc_lo, 0x4000, v34
	v_add_co_ci_u32_e32 v37, vcc_lo, 0, v35, vcc_lo
	s_waitcnt lgkmcnt(6)
	global_store_b64 v[36:37], v[20:21], off offset:2048
	s_or_b32 exec_lo, exec_lo, s2
	s_delay_alu instid0(SALU_CYCLE_1)
	s_mov_b32 s2, exec_lo
	v_cmpx_gt_u32_e64 s14, v70
	s_cbranch_execz .LBB9_106
.LBB9_193:
	v_add_co_u32 v36, vcc_lo, 0x5000, v34
	v_add_co_ci_u32_e32 v37, vcc_lo, 0, v35, vcc_lo
	s_waitcnt lgkmcnt(5)
	global_store_b64 v[36:37], v[22:23], off
	s_or_b32 exec_lo, exec_lo, s2
	s_delay_alu instid0(SALU_CYCLE_1)
	s_mov_b32 s2, exec_lo
	v_cmpx_gt_u32_e64 s14, v69
	s_cbranch_execz .LBB9_107
.LBB9_194:
	v_add_co_u32 v36, vcc_lo, 0x5000, v34
	v_add_co_ci_u32_e32 v37, vcc_lo, 0, v35, vcc_lo
	s_waitcnt lgkmcnt(4)
	global_store_b64 v[36:37], v[24:25], off offset:2048
	s_or_b32 exec_lo, exec_lo, s2
	s_delay_alu instid0(SALU_CYCLE_1)
	s_mov_b32 s2, exec_lo
	v_cmpx_gt_u32_e64 s14, v68
	s_cbranch_execz .LBB9_108
.LBB9_195:
	v_add_co_u32 v36, vcc_lo, 0x6000, v34
	v_add_co_ci_u32_e32 v37, vcc_lo, 0, v35, vcc_lo
	s_waitcnt lgkmcnt(3)
	global_store_b64 v[36:37], v[26:27], off
	s_or_b32 exec_lo, exec_lo, s2
	s_delay_alu instid0(SALU_CYCLE_1)
	s_mov_b32 s2, exec_lo
	v_cmpx_gt_u32_e64 s14, v67
	s_cbranch_execz .LBB9_109
.LBB9_196:
	v_add_co_u32 v36, vcc_lo, 0x6000, v34
	v_add_co_ci_u32_e32 v37, vcc_lo, 0, v35, vcc_lo
	s_waitcnt lgkmcnt(2)
	global_store_b64 v[36:37], v[28:29], off offset:2048
	s_or_b32 exec_lo, exec_lo, s2
	s_delay_alu instid0(SALU_CYCLE_1)
	s_mov_b32 s2, exec_lo
	v_cmpx_gt_u32_e64 s14, v66
	s_cbranch_execz .LBB9_110
.LBB9_197:
	v_add_co_u32 v36, vcc_lo, 0x7000, v34
	v_add_co_ci_u32_e32 v37, vcc_lo, 0, v35, vcc_lo
	s_waitcnt lgkmcnt(1)
	global_store_b64 v[36:37], v[30:31], off
	s_or_b32 exec_lo, exec_lo, s2
	s_delay_alu instid0(SALU_CYCLE_1)
	s_mov_b32 s2, exec_lo
	v_cmpx_gt_u32_e64 s14, v65
	s_cbranch_execnz .LBB9_111
	s_branch .LBB9_112
	.section	.rodata,"a",@progbits
	.p2align	6, 0x0
	.amdhsa_kernel _ZN7rocprim17ROCPRIM_304000_NS6detail20lookback_scan_kernelILNS1_25lookback_scan_determinismE0ELb0ENS1_19wrapped_scan_configINS0_14default_configElEEPKlPlSt4plusIvEllNS1_19lookback_scan_stateIlLb0ELb1EEEEEvT2_T3_mT5_T4_T7_jPT6_SK_bb
		.amdhsa_group_segment_fixed_size 33792
		.amdhsa_private_segment_fixed_size 0
		.amdhsa_kernarg_size 76
		.amdhsa_user_sgpr_count 15
		.amdhsa_user_sgpr_dispatch_ptr 0
		.amdhsa_user_sgpr_queue_ptr 0
		.amdhsa_user_sgpr_kernarg_segment_ptr 1
		.amdhsa_user_sgpr_dispatch_id 0
		.amdhsa_user_sgpr_private_segment_size 0
		.amdhsa_wavefront_size32 1
		.amdhsa_uses_dynamic_stack 0
		.amdhsa_enable_private_segment 0
		.amdhsa_system_sgpr_workgroup_id_x 1
		.amdhsa_system_sgpr_workgroup_id_y 0
		.amdhsa_system_sgpr_workgroup_id_z 0
		.amdhsa_system_sgpr_workgroup_info 0
		.amdhsa_system_vgpr_workitem_id 0
		.amdhsa_next_free_vgpr 96
		.amdhsa_next_free_sgpr 68
		.amdhsa_reserve_vcc 1
		.amdhsa_float_round_mode_32 0
		.amdhsa_float_round_mode_16_64 0
		.amdhsa_float_denorm_mode_32 3
		.amdhsa_float_denorm_mode_16_64 3
		.amdhsa_dx10_clamp 1
		.amdhsa_ieee_mode 1
		.amdhsa_fp16_overflow 0
		.amdhsa_workgroup_processor_mode 1
		.amdhsa_memory_ordered 1
		.amdhsa_forward_progress 0
		.amdhsa_shared_vgpr_count 0
		.amdhsa_exception_fp_ieee_invalid_op 0
		.amdhsa_exception_fp_denorm_src 0
		.amdhsa_exception_fp_ieee_div_zero 0
		.amdhsa_exception_fp_ieee_overflow 0
		.amdhsa_exception_fp_ieee_underflow 0
		.amdhsa_exception_fp_ieee_inexact 0
		.amdhsa_exception_int_div_zero 0
	.end_amdhsa_kernel
	.section	.text._ZN7rocprim17ROCPRIM_304000_NS6detail20lookback_scan_kernelILNS1_25lookback_scan_determinismE0ELb0ENS1_19wrapped_scan_configINS0_14default_configElEEPKlPlSt4plusIvEllNS1_19lookback_scan_stateIlLb0ELb1EEEEEvT2_T3_mT5_T4_T7_jPT6_SK_bb,"axG",@progbits,_ZN7rocprim17ROCPRIM_304000_NS6detail20lookback_scan_kernelILNS1_25lookback_scan_determinismE0ELb0ENS1_19wrapped_scan_configINS0_14default_configElEEPKlPlSt4plusIvEllNS1_19lookback_scan_stateIlLb0ELb1EEEEEvT2_T3_mT5_T4_T7_jPT6_SK_bb,comdat
.Lfunc_end9:
	.size	_ZN7rocprim17ROCPRIM_304000_NS6detail20lookback_scan_kernelILNS1_25lookback_scan_determinismE0ELb0ENS1_19wrapped_scan_configINS0_14default_configElEEPKlPlSt4plusIvEllNS1_19lookback_scan_stateIlLb0ELb1EEEEEvT2_T3_mT5_T4_T7_jPT6_SK_bb, .Lfunc_end9-_ZN7rocprim17ROCPRIM_304000_NS6detail20lookback_scan_kernelILNS1_25lookback_scan_determinismE0ELb0ENS1_19wrapped_scan_configINS0_14default_configElEEPKlPlSt4plusIvEllNS1_19lookback_scan_stateIlLb0ELb1EEEEEvT2_T3_mT5_T4_T7_jPT6_SK_bb
                                        ; -- End function
	.section	.AMDGPU.csdata,"",@progbits
; Kernel info:
; codeLenInByte = 11436
; NumSgprs: 70
; NumVgprs: 96
; ScratchSize: 0
; MemoryBound: 1
; FloatMode: 240
; IeeeMode: 1
; LDSByteSize: 33792 bytes/workgroup (compile time only)
; SGPRBlocks: 8
; VGPRBlocks: 11
; NumSGPRsForWavesPerEU: 70
; NumVGPRsForWavesPerEU: 96
; Occupancy: 6
; WaveLimiterHint : 1
; COMPUTE_PGM_RSRC2:SCRATCH_EN: 0
; COMPUTE_PGM_RSRC2:USER_SGPR: 15
; COMPUTE_PGM_RSRC2:TRAP_HANDLER: 0
; COMPUTE_PGM_RSRC2:TGID_X_EN: 1
; COMPUTE_PGM_RSRC2:TGID_Y_EN: 0
; COMPUTE_PGM_RSRC2:TGID_Z_EN: 0
; COMPUTE_PGM_RSRC2:TIDIG_COMP_CNT: 0
	.section	.text._ZN7rocprim17ROCPRIM_304000_NS6detail16transform_kernelINS1_24wrapped_transform_configINS0_14default_configElEElPlS6_NS0_8identityIlEEEEvT1_mT2_T3_,"axG",@progbits,_ZN7rocprim17ROCPRIM_304000_NS6detail16transform_kernelINS1_24wrapped_transform_configINS0_14default_configElEElPlS6_NS0_8identityIlEEEEvT1_mT2_T3_,comdat
	.protected	_ZN7rocprim17ROCPRIM_304000_NS6detail16transform_kernelINS1_24wrapped_transform_configINS0_14default_configElEElPlS6_NS0_8identityIlEEEEvT1_mT2_T3_ ; -- Begin function _ZN7rocprim17ROCPRIM_304000_NS6detail16transform_kernelINS1_24wrapped_transform_configINS0_14default_configElEElPlS6_NS0_8identityIlEEEEvT1_mT2_T3_
	.globl	_ZN7rocprim17ROCPRIM_304000_NS6detail16transform_kernelINS1_24wrapped_transform_configINS0_14default_configElEElPlS6_NS0_8identityIlEEEEvT1_mT2_T3_
	.p2align	8
	.type	_ZN7rocprim17ROCPRIM_304000_NS6detail16transform_kernelINS1_24wrapped_transform_configINS0_14default_configElEElPlS6_NS0_8identityIlEEEEvT1_mT2_T3_,@function
_ZN7rocprim17ROCPRIM_304000_NS6detail16transform_kernelINS1_24wrapped_transform_configINS0_14default_configElEElPlS6_NS0_8identityIlEEEEvT1_mT2_T3_: ; @_ZN7rocprim17ROCPRIM_304000_NS6detail16transform_kernelINS1_24wrapped_transform_configINS0_14default_configElEElPlS6_NS0_8identityIlEEEEvT1_mT2_T3_
; %bb.0:
	s_clause 0x2
	s_load_b32 s3, s[0:1], 0x20
	s_load_b128 s[4:7], s[0:1], 0x0
	s_load_b64 s[0:1], s[0:1], 0x10
	v_lshlrev_b32_e32 v2, 3, v0
	s_lshl_b32 s2, s15, 9
	s_waitcnt lgkmcnt(0)
	s_add_i32 s7, s3, -1
	s_mov_b32 s3, 0
	s_cmp_lg_u32 s15, s7
	s_mov_b32 s7, -1
	s_cbranch_scc0 .LBB10_2
; %bb.1:
	s_lshl_b64 s[8:9], s[2:3], 3
	s_mov_b32 s7, s3
	s_add_u32 s10, s4, s8
	s_addc_u32 s11, s5, s9
	s_add_u32 s8, s0, s8
	global_load_b64 v[3:4], v2, s[10:11]
	s_addc_u32 s9, s1, s9
	s_waitcnt vmcnt(0)
	global_store_b64 v2, v[3:4], s[8:9]
.LBB10_2:
	s_and_not1_b32 vcc_lo, exec_lo, s7
	s_cbranch_vccnz .LBB10_7
; %bb.3:
	s_sub_i32 s6, s6, s2
	s_delay_alu instid0(SALU_CYCLE_1)
	v_cmp_gt_u32_e32 vcc_lo, s6, v0
                                        ; implicit-def: $vgpr0_vgpr1
	s_and_saveexec_b32 s6, vcc_lo
	s_cbranch_execz .LBB10_5
; %bb.4:
	s_lshl_b64 s[8:9], s[2:3], 3
	s_delay_alu instid0(SALU_CYCLE_1)
	s_add_u32 s4, s4, s8
	s_addc_u32 s5, s5, s9
	global_load_b64 v[0:1], v2, s[4:5]
.LBB10_5:
	s_or_b32 exec_lo, exec_lo, s6
	s_and_saveexec_b32 s4, vcc_lo
	s_cbranch_execz .LBB10_7
; %bb.6:
	s_lshl_b64 s[2:3], s[2:3], 3
	s_delay_alu instid0(SALU_CYCLE_1)
	s_add_u32 s0, s0, s2
	s_addc_u32 s1, s1, s3
	s_waitcnt vmcnt(0)
	global_store_b64 v2, v[0:1], s[0:1]
.LBB10_7:
	s_nop 0
	s_sendmsg sendmsg(MSG_DEALLOC_VGPRS)
	s_endpgm
	.section	.rodata,"a",@progbits
	.p2align	6, 0x0
	.amdhsa_kernel _ZN7rocprim17ROCPRIM_304000_NS6detail16transform_kernelINS1_24wrapped_transform_configINS0_14default_configElEElPlS6_NS0_8identityIlEEEEvT1_mT2_T3_
		.amdhsa_group_segment_fixed_size 0
		.amdhsa_private_segment_fixed_size 0
		.amdhsa_kernarg_size 288
		.amdhsa_user_sgpr_count 15
		.amdhsa_user_sgpr_dispatch_ptr 0
		.amdhsa_user_sgpr_queue_ptr 0
		.amdhsa_user_sgpr_kernarg_segment_ptr 1
		.amdhsa_user_sgpr_dispatch_id 0
		.amdhsa_user_sgpr_private_segment_size 0
		.amdhsa_wavefront_size32 1
		.amdhsa_uses_dynamic_stack 0
		.amdhsa_enable_private_segment 0
		.amdhsa_system_sgpr_workgroup_id_x 1
		.amdhsa_system_sgpr_workgroup_id_y 0
		.amdhsa_system_sgpr_workgroup_id_z 0
		.amdhsa_system_sgpr_workgroup_info 0
		.amdhsa_system_vgpr_workitem_id 0
		.amdhsa_next_free_vgpr 5
		.amdhsa_next_free_sgpr 16
		.amdhsa_reserve_vcc 1
		.amdhsa_float_round_mode_32 0
		.amdhsa_float_round_mode_16_64 0
		.amdhsa_float_denorm_mode_32 3
		.amdhsa_float_denorm_mode_16_64 3
		.amdhsa_dx10_clamp 1
		.amdhsa_ieee_mode 1
		.amdhsa_fp16_overflow 0
		.amdhsa_workgroup_processor_mode 1
		.amdhsa_memory_ordered 1
		.amdhsa_forward_progress 0
		.amdhsa_shared_vgpr_count 0
		.amdhsa_exception_fp_ieee_invalid_op 0
		.amdhsa_exception_fp_denorm_src 0
		.amdhsa_exception_fp_ieee_div_zero 0
		.amdhsa_exception_fp_ieee_overflow 0
		.amdhsa_exception_fp_ieee_underflow 0
		.amdhsa_exception_fp_ieee_inexact 0
		.amdhsa_exception_int_div_zero 0
	.end_amdhsa_kernel
	.section	.text._ZN7rocprim17ROCPRIM_304000_NS6detail16transform_kernelINS1_24wrapped_transform_configINS0_14default_configElEElPlS6_NS0_8identityIlEEEEvT1_mT2_T3_,"axG",@progbits,_ZN7rocprim17ROCPRIM_304000_NS6detail16transform_kernelINS1_24wrapped_transform_configINS0_14default_configElEElPlS6_NS0_8identityIlEEEEvT1_mT2_T3_,comdat
.Lfunc_end10:
	.size	_ZN7rocprim17ROCPRIM_304000_NS6detail16transform_kernelINS1_24wrapped_transform_configINS0_14default_configElEElPlS6_NS0_8identityIlEEEEvT1_mT2_T3_, .Lfunc_end10-_ZN7rocprim17ROCPRIM_304000_NS6detail16transform_kernelINS1_24wrapped_transform_configINS0_14default_configElEElPlS6_NS0_8identityIlEEEEvT1_mT2_T3_
                                        ; -- End function
	.section	.AMDGPU.csdata,"",@progbits
; Kernel info:
; codeLenInByte = 208
; NumSgprs: 18
; NumVgprs: 5
; ScratchSize: 0
; MemoryBound: 0
; FloatMode: 240
; IeeeMode: 1
; LDSByteSize: 0 bytes/workgroup (compile time only)
; SGPRBlocks: 2
; VGPRBlocks: 0
; NumSGPRsForWavesPerEU: 18
; NumVGPRsForWavesPerEU: 5
; Occupancy: 16
; WaveLimiterHint : 0
; COMPUTE_PGM_RSRC2:SCRATCH_EN: 0
; COMPUTE_PGM_RSRC2:USER_SGPR: 15
; COMPUTE_PGM_RSRC2:TRAP_HANDLER: 0
; COMPUTE_PGM_RSRC2:TGID_X_EN: 1
; COMPUTE_PGM_RSRC2:TGID_Y_EN: 0
; COMPUTE_PGM_RSRC2:TGID_Z_EN: 0
; COMPUTE_PGM_RSRC2:TIDIG_COMP_CNT: 0
	.section	.text._ZN7rocprim17ROCPRIM_304000_NS6detail18single_scan_kernelILb0ENS1_19wrapped_scan_configINS0_14default_configElEEPKlPlSt4plusIvEllEEvT1_mT4_T2_T3_,"axG",@progbits,_ZN7rocprim17ROCPRIM_304000_NS6detail18single_scan_kernelILb0ENS1_19wrapped_scan_configINS0_14default_configElEEPKlPlSt4plusIvEllEEvT1_mT4_T2_T3_,comdat
	.protected	_ZN7rocprim17ROCPRIM_304000_NS6detail18single_scan_kernelILb0ENS1_19wrapped_scan_configINS0_14default_configElEEPKlPlSt4plusIvEllEEvT1_mT4_T2_T3_ ; -- Begin function _ZN7rocprim17ROCPRIM_304000_NS6detail18single_scan_kernelILb0ENS1_19wrapped_scan_configINS0_14default_configElEEPKlPlSt4plusIvEllEEvT1_mT4_T2_T3_
	.globl	_ZN7rocprim17ROCPRIM_304000_NS6detail18single_scan_kernelILb0ENS1_19wrapped_scan_configINS0_14default_configElEEPKlPlSt4plusIvEllEEvT1_mT4_T2_T3_
	.p2align	8
	.type	_ZN7rocprim17ROCPRIM_304000_NS6detail18single_scan_kernelILb0ENS1_19wrapped_scan_configINS0_14default_configElEEPKlPlSt4plusIvEllEEvT1_mT4_T2_T3_,@function
_ZN7rocprim17ROCPRIM_304000_NS6detail18single_scan_kernelILb0ENS1_19wrapped_scan_configINS0_14default_configElEEPKlPlSt4plusIvEllEEvT1_mT4_T2_T3_: ; @_ZN7rocprim17ROCPRIM_304000_NS6detail18single_scan_kernelILb0ENS1_19wrapped_scan_configINS0_14default_configElEEPKlPlSt4plusIvEllEEvT1_mT4_T2_T3_
; %bb.0:
	s_load_b128 s[16:19], s[0:1], 0x0
	s_waitcnt lgkmcnt(0)
	s_load_b64 s[36:37], s[16:17], 0x0
	v_cmp_gt_u32_e32 vcc_lo, s18, v0
	s_waitcnt lgkmcnt(0)
	s_mov_b32 s38, s36
	s_mov_b32 s39, s37
	;; [unrolled: 1-line block ×30, first 2 shown]
	v_lshlrev_b32_e32 v55, 3, v0
	v_dual_mov_b32 v1, s36 :: v_dual_mov_b32 v4, s39
	v_dual_mov_b32 v2, s37 :: v_dual_mov_b32 v33, s36
	s_delay_alu instid0(VALU_DEP_3) | instskip(NEXT) | instid1(VALU_DEP_1)
	v_add_co_u32 v35, s2, s16, v55
	v_add_co_ci_u32_e64 v36, null, s17, 0, s2
	v_dual_mov_b32 v3, s38 :: v_dual_mov_b32 v6, s41
	v_dual_mov_b32 v5, s40 :: v_dual_mov_b32 v8, s43
	;; [unrolled: 1-line block ×15, first 2 shown]
	s_and_saveexec_b32 s2, vcc_lo
	s_cbranch_execz .LBB11_2
; %bb.1:
	global_load_b64 v[33:34], v[35:36], off
	v_dual_mov_b32 v1, s36 :: v_dual_mov_b32 v2, s37
	v_dual_mov_b32 v3, s38 :: v_dual_mov_b32 v4, s39
	v_dual_mov_b32 v5, s40 :: v_dual_mov_b32 v6, s41
	v_dual_mov_b32 v7, s42 :: v_dual_mov_b32 v8, s43
	v_dual_mov_b32 v9, s44 :: v_dual_mov_b32 v10, s45
	v_dual_mov_b32 v11, s46 :: v_dual_mov_b32 v12, s47
	v_dual_mov_b32 v13, s48 :: v_dual_mov_b32 v14, s49
	v_dual_mov_b32 v15, s50 :: v_dual_mov_b32 v16, s51
	v_dual_mov_b32 v17, s52 :: v_dual_mov_b32 v18, s53
	v_dual_mov_b32 v19, s54 :: v_dual_mov_b32 v20, s55
	v_dual_mov_b32 v21, s56 :: v_dual_mov_b32 v22, s57
	v_dual_mov_b32 v23, s58 :: v_dual_mov_b32 v24, s59
	v_dual_mov_b32 v25, s60 :: v_dual_mov_b32 v26, s61
	v_dual_mov_b32 v27, s62 :: v_dual_mov_b32 v28, s63
	v_dual_mov_b32 v29, s64 :: v_dual_mov_b32 v30, s65
	v_dual_mov_b32 v31, s66 :: v_dual_mov_b32 v32, s67
.LBB11_2:
	s_or_b32 exec_lo, exec_lo, s2
	v_or_b32_e32 v1, 0x100, v0
	s_delay_alu instid0(VALU_DEP_1) | instskip(NEXT) | instid1(VALU_DEP_1)
	v_cmp_gt_u32_e64 s2, s18, v1
	s_and_saveexec_b32 s3, s2
	s_cbranch_execz .LBB11_4
; %bb.3:
	global_load_b64 v[3:4], v[35:36], off offset:2048
.LBB11_4:
	s_or_b32 exec_lo, exec_lo, s3
	v_or_b32_e32 v2, 0x200, v0
	s_delay_alu instid0(VALU_DEP_1) | instskip(NEXT) | instid1(VALU_DEP_1)
	v_cmp_gt_u32_e64 s3, s18, v2
	s_and_saveexec_b32 s5, s3
	s_cbranch_execz .LBB11_6
; %bb.5:
	v_add_co_u32 v5, s4, 0x1000, v35
	s_delay_alu instid0(VALU_DEP_1)
	v_add_co_ci_u32_e64 v6, s4, 0, v36, s4
	global_load_b64 v[5:6], v[5:6], off
.LBB11_6:
	s_or_b32 exec_lo, exec_lo, s5
	v_or_b32_e32 v37, 0x300, v0
	s_delay_alu instid0(VALU_DEP_1) | instskip(NEXT) | instid1(VALU_DEP_1)
	v_cmp_gt_u32_e64 s4, s18, v37
	s_and_saveexec_b32 s6, s4
	s_cbranch_execz .LBB11_8
; %bb.7:
	v_add_co_u32 v7, s5, 0x1000, v35
	s_delay_alu instid0(VALU_DEP_1)
	v_add_co_ci_u32_e64 v8, s5, 0, v36, s5
	global_load_b64 v[7:8], v[7:8], off offset:2048
.LBB11_8:
	s_or_b32 exec_lo, exec_lo, s6
	v_or_b32_e32 v38, 0x400, v0
	s_delay_alu instid0(VALU_DEP_1) | instskip(NEXT) | instid1(VALU_DEP_1)
	v_cmp_gt_u32_e64 s5, s18, v38
	s_and_saveexec_b32 s7, s5
	s_cbranch_execz .LBB11_10
; %bb.9:
	v_add_co_u32 v9, s6, 0x2000, v35
	s_delay_alu instid0(VALU_DEP_1)
	v_add_co_ci_u32_e64 v10, s6, 0, v36, s6
	global_load_b64 v[9:10], v[9:10], off
.LBB11_10:
	s_or_b32 exec_lo, exec_lo, s7
	v_or_b32_e32 v39, 0x500, v0
	s_delay_alu instid0(VALU_DEP_1) | instskip(NEXT) | instid1(VALU_DEP_1)
	v_cmp_gt_u32_e64 s6, s18, v39
	s_and_saveexec_b32 s8, s6
	s_cbranch_execz .LBB11_12
; %bb.11:
	v_add_co_u32 v11, s7, 0x2000, v35
	s_delay_alu instid0(VALU_DEP_1)
	v_add_co_ci_u32_e64 v12, s7, 0, v36, s7
	global_load_b64 v[11:12], v[11:12], off offset:2048
.LBB11_12:
	;; [unrolled: 24-line block ×7, first 2 shown]
	s_or_b32 exec_lo, exec_lo, s18
	v_lshrrev_b32_e32 v1, 2, v1
	v_lshrrev_b32_e32 v2, 2, v2
	;; [unrolled: 1-line block ×5, first 2 shown]
	v_and_b32_e32 v1, 0x78, v1
	v_lshrrev_b32_e32 v38, 2, v39
	v_and_b32_e32 v2, 0xf8, v2
	v_and_b32_e32 v35, 56, v35
	s_mov_b32 s18, exec_lo
	v_add_nc_u32_e32 v57, v1, v55
	v_and_b32_e32 v1, 0xf8, v36
	v_add_nc_u32_e32 v58, v2, v55
	v_and_b32_e32 v2, 0x1f8, v38
	v_add_nc_u32_e32 v56, v35, v55
	s_waitcnt vmcnt(0)
	ds_store_b64 v56, v[33:34]
	ds_store_b64 v57, v[3:4] offset:2048
	v_add_nc_u32_e32 v59, v1, v55
	v_lshrrev_b32_e32 v1, 2, v40
	v_add_nc_u32_e32 v61, v2, v55
	v_lshrrev_b32_e32 v2, 2, v41
	v_lshrrev_b32_e32 v3, 2, v42
	;; [unrolled: 1-line block ×3, first 2 shown]
	v_and_b32_e32 v1, 0x1f8, v1
	v_and_b32_e32 v35, 0x1f8, v37
	ds_store_b64 v58, v[5:6] offset:4096
	v_and_b32_e32 v3, 0x3f8, v3
	v_and_b32_e32 v4, 0x3f8, v4
	v_add_nc_u32_e32 v62, v1, v55
	v_and_b32_e32 v1, 0x1f8, v2
	v_lshrrev_b32_e32 v2, 2, v44
	v_add_nc_u32_e32 v64, v3, v55
	v_lshrrev_b32_e32 v3, 2, v47
	v_add_nc_u32_e32 v65, v4, v55
	v_add_nc_u32_e32 v63, v1, v55
	v_and_b32_e32 v1, 0x3f8, v2
	v_lshrrev_b32_e32 v2, 2, v45
	v_and_b32_e32 v3, 0x3f8, v3
	v_lshrrev_b32_e32 v4, 2, v48
	v_add_nc_u32_e32 v60, v35, v55
	v_add_nc_u32_e32 v66, v1, v55
	v_and_b32_e32 v1, 0x3f8, v2
	v_lshrrev_b32_e32 v2, 2, v46
	v_add_nc_u32_e32 v69, v3, v55
	v_lshrrev_b32_e32 v3, 1, v0
	v_and_b32_e32 v4, 0x3f8, v4
	v_add_nc_u32_e32 v67, v1, v55
	v_and_b32_e32 v1, 0x3f8, v2
	v_lshrrev_b32_e32 v2, 2, v49
	ds_store_b64 v59, v[7:8] offset:6144
	ds_store_b64 v60, v[9:10] offset:8192
	v_add_nc_u32_e32 v70, v4, v55
	ds_store_b64 v61, v[11:12] offset:10240
	v_add_nc_u32_e32 v68, v1, v55
	v_and_b32_e32 v1, 0x3f8, v2
	v_lshlrev_b32_e32 v2, 4, v0
	ds_store_b64 v62, v[13:14] offset:12288
	ds_store_b64 v63, v[15:16] offset:14336
	;; [unrolled: 1-line block ×4, first 2 shown]
	v_add_nc_u32_e32 v71, v1, v55
	v_add_lshl_u32 v72, v3, v2, 3
	ds_store_b64 v66, v[21:22] offset:20480
	ds_store_b64 v67, v[23:24] offset:22528
	;; [unrolled: 1-line block ×6, first 2 shown]
	s_waitcnt lgkmcnt(0)
	s_barrier
	buffer_gl0_inv
	ds_load_2addr_b64 v[1:4], v72 offset1:1
	ds_load_2addr_b64 v[5:8], v72 offset0:2 offset1:3
	ds_load_2addr_b64 v[9:12], v72 offset0:4 offset1:5
	;; [unrolled: 1-line block ×6, first 2 shown]
	s_waitcnt lgkmcnt(6)
	v_add_co_u32 v13, s17, v3, v1
	s_delay_alu instid0(VALU_DEP_1) | instskip(SKIP_1) | instid1(VALU_DEP_2)
	v_add_co_ci_u32_e64 v14, s17, v4, v2, s17
	s_waitcnt lgkmcnt(5)
	v_add_co_u32 v13, s17, v13, v5
	s_delay_alu instid0(VALU_DEP_1) | instskip(NEXT) | instid1(VALU_DEP_2)
	v_add_co_ci_u32_e64 v14, s17, v14, v6, s17
	v_add_co_u32 v13, s17, v13, v7
	s_delay_alu instid0(VALU_DEP_1) | instskip(SKIP_1) | instid1(VALU_DEP_2)
	v_add_co_ci_u32_e64 v14, s17, v14, v8, s17
	s_waitcnt lgkmcnt(4)
	v_add_co_u32 v13, s17, v13, v9
	s_delay_alu instid0(VALU_DEP_1) | instskip(NEXT) | instid1(VALU_DEP_2)
	v_add_co_ci_u32_e64 v14, s17, v14, v10, s17
	;; [unrolled: 7-line block ×4, first 2 shown]
	v_add_co_u32 v33, s17, v13, v27
	s_delay_alu instid0(VALU_DEP_1) | instskip(SKIP_3) | instid1(VALU_DEP_1)
	v_add_co_ci_u32_e64 v34, s17, v14, v28, s17
	ds_load_2addr_b64 v[13:16], v72 offset0:14 offset1:15
	s_waitcnt lgkmcnt(2)
	v_add_co_u32 v33, s17, v33, v29
	v_add_co_ci_u32_e64 v34, s17, v34, v30, s17
	s_waitcnt lgkmcnt(0)
	s_delay_alu instid0(VALU_DEP_2) | instskip(NEXT) | instid1(VALU_DEP_1)
	v_add_co_u32 v33, s17, v33, v31
	v_add_co_ci_u32_e64 v34, s17, v34, v32, s17
	s_barrier
	s_delay_alu instid0(VALU_DEP_2) | instskip(NEXT) | instid1(VALU_DEP_1)
	v_add_co_u32 v33, s17, v33, v17
	v_add_co_ci_u32_e64 v34, s17, v34, v18, s17
	buffer_gl0_inv
	v_add_co_u32 v33, s17, v33, v19
	s_delay_alu instid0(VALU_DEP_1) | instskip(NEXT) | instid1(VALU_DEP_2)
	v_add_co_ci_u32_e64 v34, s17, v34, v20, s17
	v_add_co_u32 v33, s17, v33, v13
	s_delay_alu instid0(VALU_DEP_1) | instskip(NEXT) | instid1(VALU_DEP_2)
	v_add_co_ci_u32_e64 v34, s17, v34, v14, s17
	v_add_co_u32 v49, s17, v33, v15
	s_delay_alu instid0(VALU_DEP_1)
	v_add_co_ci_u32_e64 v50, s17, v34, v16, s17
	ds_store_b64 v56, v[49:50]
	s_waitcnt lgkmcnt(0)
	s_barrier
	buffer_gl0_inv
	v_cmpx_gt_u32_e32 32, v0
	s_cbranch_execz .LBB11_42
; %bb.33:
	v_lshlrev_b32_e32 v33, 1, v0
	v_mbcnt_lo_u32_b32 v74, -1, 0
	s_mov_b32 s19, exec_lo
	s_delay_alu instid0(VALU_DEP_2) | instskip(NEXT) | instid1(VALU_DEP_2)
	v_and_b32_e32 v33, 0x1f8, v33
	v_and_b32_e32 v75, 15, v74
	s_delay_alu instid0(VALU_DEP_2)
	v_lshl_or_b32 v73, v0, 6, v33
	ds_load_2addr_b64 v[33:36], v73 offset1:1
	ds_load_2addr_b64 v[37:40], v73 offset0:2 offset1:3
	ds_load_2addr_b64 v[41:44], v73 offset0:4 offset1:5
	;; [unrolled: 1-line block ×3, first 2 shown]
	s_waitcnt lgkmcnt(3)
	v_add_co_u32 v51, s17, v35, v33
	s_delay_alu instid0(VALU_DEP_1) | instskip(SKIP_1) | instid1(VALU_DEP_2)
	v_add_co_ci_u32_e64 v52, s17, v36, v34, s17
	s_waitcnt lgkmcnt(2)
	v_add_co_u32 v51, s17, v51, v37
	s_delay_alu instid0(VALU_DEP_1) | instskip(NEXT) | instid1(VALU_DEP_2)
	v_add_co_ci_u32_e64 v52, s17, v52, v38, s17
	v_add_co_u32 v51, s17, v51, v39
	s_delay_alu instid0(VALU_DEP_1) | instskip(SKIP_1) | instid1(VALU_DEP_2)
	v_add_co_ci_u32_e64 v52, s17, v52, v40, s17
	s_waitcnt lgkmcnt(1)
	v_add_co_u32 v51, s17, v51, v41
	s_delay_alu instid0(VALU_DEP_1) | instskip(NEXT) | instid1(VALU_DEP_2)
	v_add_co_ci_u32_e64 v52, s17, v52, v42, s17
	;; [unrolled: 7-line block ×3, first 2 shown]
	v_add_co_u32 v51, s17, v51, v47
	s_delay_alu instid0(VALU_DEP_1) | instskip(NEXT) | instid1(VALU_DEP_2)
	v_add_co_ci_u32_e64 v52, s17, v52, v48, s17
	v_mov_b32_dpp v77, v51 row_shr:1 row_mask:0xf bank_mask:0xf
	s_delay_alu instid0(VALU_DEP_2)
	v_mov_b32_e32 v54, v52
	v_mov_b32_dpp v76, v52 row_shr:1 row_mask:0xf bank_mask:0xf
	v_mov_b32_e32 v53, v51
	v_cmpx_ne_u32_e32 0, v75
; %bb.34:
	v_add_co_u32 v51, s17, v51, v77
	s_delay_alu instid0(VALU_DEP_1) | instskip(NEXT) | instid1(VALU_DEP_2)
	v_add_co_ci_u32_e64 v52, s17, 0, v52, s17
	v_add_co_u32 v53, s17, 0, v51
	s_delay_alu instid0(VALU_DEP_1) | instskip(NEXT) | instid1(VALU_DEP_1)
	v_add_co_ci_u32_e64 v54, s17, v76, v52, s17
	v_mov_b32_e32 v52, v54
; %bb.35:
	s_or_b32 exec_lo, exec_lo, s19
	v_mov_b32_dpp v77, v51 row_shr:2 row_mask:0xf bank_mask:0xf
	s_delay_alu instid0(VALU_DEP_2)
	v_mov_b32_dpp v76, v52 row_shr:2 row_mask:0xf bank_mask:0xf
	s_mov_b32 s19, exec_lo
	v_cmpx_lt_u32_e32 1, v75
; %bb.36:
	s_delay_alu instid0(VALU_DEP_3) | instskip(NEXT) | instid1(VALU_DEP_1)
	v_add_co_u32 v51, s17, v53, v77
	v_add_co_ci_u32_e64 v52, s17, 0, v54, s17
	s_delay_alu instid0(VALU_DEP_2) | instskip(NEXT) | instid1(VALU_DEP_1)
	v_add_co_u32 v53, s17, 0, v51
	v_add_co_ci_u32_e64 v54, s17, v76, v52, s17
	s_delay_alu instid0(VALU_DEP_1)
	v_mov_b32_e32 v52, v54
; %bb.37:
	s_or_b32 exec_lo, exec_lo, s19
	v_mov_b32_dpp v77, v51 row_shr:4 row_mask:0xf bank_mask:0xf
	s_delay_alu instid0(VALU_DEP_2)
	v_mov_b32_dpp v76, v52 row_shr:4 row_mask:0xf bank_mask:0xf
	s_mov_b32 s19, exec_lo
	v_cmpx_lt_u32_e32 3, v75
; %bb.38:
	s_delay_alu instid0(VALU_DEP_3) | instskip(NEXT) | instid1(VALU_DEP_1)
	v_add_co_u32 v51, s17, v53, v77
	v_add_co_ci_u32_e64 v52, s17, 0, v54, s17
	s_delay_alu instid0(VALU_DEP_2) | instskip(NEXT) | instid1(VALU_DEP_1)
	v_add_co_u32 v53, s17, 0, v51
	v_add_co_ci_u32_e64 v54, s17, v76, v52, s17
	s_delay_alu instid0(VALU_DEP_1)
	;; [unrolled: 16-line block ×3, first 2 shown]
	v_mov_b32_e32 v52, v54
; %bb.41:
	s_or_b32 exec_lo, exec_lo, s19
	ds_swizzle_b32 v75, v51 offset:swizzle(BROADCAST,32,15)
	ds_swizzle_b32 v76, v52 offset:swizzle(BROADCAST,32,15)
	v_add_nc_u32_e32 v77, -1, v74
	v_and_b32_e32 v78, 16, v74
	s_delay_alu instid0(VALU_DEP_2) | instskip(NEXT) | instid1(VALU_DEP_1)
	v_cmp_gt_i32_e64 s17, 0, v77
	v_cndmask_b32_e64 v74, v77, v74, s17
	s_delay_alu instid0(VALU_DEP_1) | instskip(SKIP_2) | instid1(VALU_DEP_1)
	v_lshlrev_b32_e32 v74, 2, v74
	s_waitcnt lgkmcnt(1)
	v_add_co_u32 v53, s17, v53, v75
	v_add_co_ci_u32_e64 v54, s17, 0, v54, s17
	v_cmp_eq_u32_e64 s17, 0, v78
	s_delay_alu instid0(VALU_DEP_1) | instskip(SKIP_1) | instid1(VALU_DEP_3)
	v_cndmask_b32_e64 v51, v53, v51, s17
	s_waitcnt lgkmcnt(0)
	v_add_nc_u32_e32 v53, v76, v54
	ds_bpermute_b32 v51, v74, v51
	v_cndmask_b32_e64 v52, v53, v52, s17
	ds_bpermute_b32 v52, v74, v52
	s_waitcnt lgkmcnt(1)
	v_add_co_u32 v33, s17, v33, v51
	s_delay_alu instid0(VALU_DEP_1) | instskip(NEXT) | instid1(VALU_DEP_2)
	v_add_co_ci_u32_e64 v34, s17, 0, v34, s17
	v_add_co_u32 v33, s17, v33, 0
	s_waitcnt lgkmcnt(0)
	s_delay_alu instid0(VALU_DEP_2) | instskip(SKIP_1) | instid1(VALU_DEP_1)
	v_add_co_ci_u32_e64 v34, s17, v34, v52, s17
	v_cmp_eq_u32_e64 s17, 0, v0
	v_cndmask_b32_e64 v33, v33, v49, s17
	s_delay_alu instid0(VALU_DEP_3) | instskip(NEXT) | instid1(VALU_DEP_2)
	v_cndmask_b32_e64 v34, v34, v50, s17
	v_add_co_u32 v35, s17, v33, v35
	s_delay_alu instid0(VALU_DEP_1) | instskip(NEXT) | instid1(VALU_DEP_2)
	v_add_co_ci_u32_e64 v36, s17, v34, v36, s17
	v_add_co_u32 v37, s17, v35, v37
	s_delay_alu instid0(VALU_DEP_1) | instskip(NEXT) | instid1(VALU_DEP_2)
	v_add_co_ci_u32_e64 v38, s17, v36, v38, s17
	;; [unrolled: 3-line block ×6, first 2 shown]
	v_add_co_u32 v47, s17, v45, v47
	s_delay_alu instid0(VALU_DEP_1)
	v_add_co_ci_u32_e64 v48, s17, v46, v48, s17
	ds_store_2addr_b64 v73, v[33:34], v[35:36] offset1:1
	ds_store_2addr_b64 v73, v[37:38], v[39:40] offset0:2 offset1:3
	ds_store_2addr_b64 v73, v[41:42], v[43:44] offset0:4 offset1:5
	;; [unrolled: 1-line block ×3, first 2 shown]
.LBB11_42:
	s_or_b32 exec_lo, exec_lo, s18
	v_mov_b32_e32 v33, 0
	v_mov_b32_e32 v34, 0
	s_mov_b32 s18, exec_lo
	s_waitcnt lgkmcnt(0)
	s_barrier
	buffer_gl0_inv
	v_cmpx_ne_u32_e32 0, v0
	s_cbranch_execz .LBB11_44
; %bb.43:
	v_add_nc_u32_e32 v0, -1, v0
	s_delay_alu instid0(VALU_DEP_1) | instskip(NEXT) | instid1(VALU_DEP_1)
	v_lshrrev_b32_e32 v33, 5, v0
	v_add_lshl_u32 v0, v33, v0, 3
	ds_load_b64 v[33:34], v0
.LBB11_44:
	s_or_b32 exec_lo, exec_lo, s18
	s_waitcnt lgkmcnt(0)
	v_add_co_u32 v0, s17, v33, v1
	s_delay_alu instid0(VALU_DEP_1) | instskip(SKIP_1) | instid1(VALU_DEP_2)
	v_add_co_ci_u32_e64 v1, s17, v34, v2, s17
	s_load_b64 s[18:19], s[0:1], 0x18
	v_add_co_u32 v2, s17, v0, v3
	s_delay_alu instid0(VALU_DEP_1) | instskip(SKIP_1) | instid1(VALU_DEP_2)
	v_add_co_ci_u32_e64 v3, s17, v1, v4, s17
	s_waitcnt lgkmcnt(0)
	v_add_co_u32 v4, s17, v2, v5
	s_delay_alu instid0(VALU_DEP_1) | instskip(SKIP_1) | instid1(VALU_DEP_2)
	v_add_co_ci_u32_e64 v5, s17, v3, v6, s17
	s_barrier
	v_add_co_u32 v6, s17, v4, v7
	s_delay_alu instid0(VALU_DEP_1) | instskip(SKIP_2) | instid1(VALU_DEP_1)
	v_add_co_ci_u32_e64 v7, s17, v5, v8, s17
	buffer_gl0_inv
	v_add_co_u32 v8, s17, v6, v9
	v_add_co_ci_u32_e64 v9, s17, v7, v10, s17
	ds_store_2addr_b64 v72, v[0:1], v[2:3] offset1:1
	ds_store_2addr_b64 v72, v[4:5], v[6:7] offset0:2 offset1:3
	v_add_co_u32 v10, s17, v8, v11
	s_delay_alu instid0(VALU_DEP_1) | instskip(NEXT) | instid1(VALU_DEP_2)
	v_add_co_ci_u32_e64 v11, s17, v9, v12, s17
	v_add_co_u32 v21, s17, v10, v21
	s_delay_alu instid0(VALU_DEP_1) | instskip(NEXT) | instid1(VALU_DEP_2)
	v_add_co_ci_u32_e64 v22, s17, v11, v22, s17
	;; [unrolled: 3-line block ×10, first 2 shown]
	v_add_co_u32 v0, s0, v12, v15
	s_delay_alu instid0(VALU_DEP_1)
	v_add_co_ci_u32_e64 v1, s0, v13, v16, s0
	ds_store_2addr_b64 v72, v[8:9], v[10:11] offset0:4 offset1:5
	ds_store_2addr_b64 v72, v[21:22], v[23:24] offset0:6 offset1:7
	;; [unrolled: 1-line block ×6, first 2 shown]
	s_waitcnt lgkmcnt(0)
	s_barrier
	buffer_gl0_inv
	ds_load_b64 v[30:31], v57 offset:2048
	ds_load_b64 v[28:29], v58 offset:4096
	;; [unrolled: 1-line block ×15, first 2 shown]
	v_add_co_u32 v2, s0, s18, v55
	s_delay_alu instid0(VALU_DEP_1)
	v_add_co_ci_u32_e64 v3, null, s19, 0, s0
	s_and_saveexec_b32 s0, vcc_lo
	s_cbranch_execnz .LBB11_61
; %bb.45:
	s_or_b32 exec_lo, exec_lo, s0
	s_and_saveexec_b32 s0, s2
	s_cbranch_execnz .LBB11_62
.LBB11_46:
	s_or_b32 exec_lo, exec_lo, s0
	s_and_saveexec_b32 s0, s3
	s_cbranch_execnz .LBB11_63
.LBB11_47:
	s_or_b32 exec_lo, exec_lo, s0
	s_and_saveexec_b32 s0, s4
	s_cbranch_execnz .LBB11_64
.LBB11_48:
	s_or_b32 exec_lo, exec_lo, s0
	s_and_saveexec_b32 s0, s5
	s_cbranch_execnz .LBB11_65
.LBB11_49:
	s_or_b32 exec_lo, exec_lo, s0
	s_and_saveexec_b32 s0, s6
	s_cbranch_execnz .LBB11_66
.LBB11_50:
	s_or_b32 exec_lo, exec_lo, s0
	s_and_saveexec_b32 s0, s7
	s_cbranch_execnz .LBB11_67
.LBB11_51:
	s_or_b32 exec_lo, exec_lo, s0
	s_and_saveexec_b32 s0, s8
	s_cbranch_execnz .LBB11_68
.LBB11_52:
	s_or_b32 exec_lo, exec_lo, s0
	s_and_saveexec_b32 s0, s9
	s_cbranch_execnz .LBB11_69
.LBB11_53:
	s_or_b32 exec_lo, exec_lo, s0
	s_and_saveexec_b32 s0, s10
	s_cbranch_execnz .LBB11_70
.LBB11_54:
	s_or_b32 exec_lo, exec_lo, s0
	s_and_saveexec_b32 s0, s11
	s_cbranch_execnz .LBB11_71
.LBB11_55:
	s_or_b32 exec_lo, exec_lo, s0
	s_and_saveexec_b32 s0, s12
	s_cbranch_execnz .LBB11_72
.LBB11_56:
	s_or_b32 exec_lo, exec_lo, s0
	s_and_saveexec_b32 s0, s13
	s_cbranch_execnz .LBB11_73
.LBB11_57:
	s_or_b32 exec_lo, exec_lo, s0
	s_and_saveexec_b32 s0, s14
	s_cbranch_execnz .LBB11_74
.LBB11_58:
	s_or_b32 exec_lo, exec_lo, s0
	s_and_saveexec_b32 s0, s15
	s_cbranch_execnz .LBB11_75
.LBB11_59:
	s_or_b32 exec_lo, exec_lo, s0
	s_and_saveexec_b32 s0, s16
	s_cbranch_execnz .LBB11_76
.LBB11_60:
	s_nop 0
	s_sendmsg sendmsg(MSG_DEALLOC_VGPRS)
	s_endpgm
.LBB11_61:
	ds_load_b64 v[32:33], v56
	s_waitcnt lgkmcnt(0)
	global_store_b64 v[2:3], v[32:33], off
	s_or_b32 exec_lo, exec_lo, s0
	s_and_saveexec_b32 s0, s2
	s_cbranch_execz .LBB11_46
.LBB11_62:
	s_waitcnt lgkmcnt(14)
	global_store_b64 v[2:3], v[30:31], off offset:2048
	s_or_b32 exec_lo, exec_lo, s0
	s_and_saveexec_b32 s0, s3
	s_cbranch_execz .LBB11_47
.LBB11_63:
	s_waitcnt lgkmcnt(14)
	v_add_co_u32 v30, vcc_lo, 0x1000, v2
	v_add_co_ci_u32_e32 v31, vcc_lo, 0, v3, vcc_lo
	s_waitcnt lgkmcnt(13)
	global_store_b64 v[30:31], v[28:29], off
	s_or_b32 exec_lo, exec_lo, s0
	s_and_saveexec_b32 s0, s4
	s_cbranch_execz .LBB11_48
.LBB11_64:
	s_waitcnt lgkmcnt(13)
	v_add_co_u32 v28, vcc_lo, 0x1000, v2
	v_add_co_ci_u32_e32 v29, vcc_lo, 0, v3, vcc_lo
	s_waitcnt lgkmcnt(12)
	global_store_b64 v[28:29], v[26:27], off offset:2048
	s_or_b32 exec_lo, exec_lo, s0
	s_and_saveexec_b32 s0, s5
	s_cbranch_execz .LBB11_49
.LBB11_65:
	s_waitcnt lgkmcnt(12)
	v_add_co_u32 v26, vcc_lo, 0x2000, v2
	v_add_co_ci_u32_e32 v27, vcc_lo, 0, v3, vcc_lo
	s_waitcnt lgkmcnt(11)
	global_store_b64 v[26:27], v[24:25], off
	s_or_b32 exec_lo, exec_lo, s0
	s_and_saveexec_b32 s0, s6
	s_cbranch_execz .LBB11_50
.LBB11_66:
	s_waitcnt lgkmcnt(11)
	v_add_co_u32 v24, vcc_lo, 0x2000, v2
	v_add_co_ci_u32_e32 v25, vcc_lo, 0, v3, vcc_lo
	s_waitcnt lgkmcnt(10)
	global_store_b64 v[24:25], v[22:23], off offset:2048
	s_or_b32 exec_lo, exec_lo, s0
	s_and_saveexec_b32 s0, s7
	s_cbranch_execz .LBB11_51
.LBB11_67:
	s_waitcnt lgkmcnt(10)
	v_add_co_u32 v22, vcc_lo, 0x3000, v2
	v_add_co_ci_u32_e32 v23, vcc_lo, 0, v3, vcc_lo
	s_waitcnt lgkmcnt(9)
	global_store_b64 v[22:23], v[20:21], off
	s_or_b32 exec_lo, exec_lo, s0
	s_and_saveexec_b32 s0, s8
	s_cbranch_execz .LBB11_52
.LBB11_68:
	s_waitcnt lgkmcnt(9)
	v_add_co_u32 v20, vcc_lo, 0x3000, v2
	v_add_co_ci_u32_e32 v21, vcc_lo, 0, v3, vcc_lo
	s_waitcnt lgkmcnt(8)
	global_store_b64 v[20:21], v[18:19], off offset:2048
	s_or_b32 exec_lo, exec_lo, s0
	s_and_saveexec_b32 s0, s9
	s_cbranch_execz .LBB11_53
.LBB11_69:
	s_waitcnt lgkmcnt(8)
	v_add_co_u32 v18, vcc_lo, 0x4000, v2
	v_add_co_ci_u32_e32 v19, vcc_lo, 0, v3, vcc_lo
	s_waitcnt lgkmcnt(7)
	global_store_b64 v[18:19], v[16:17], off
	s_or_b32 exec_lo, exec_lo, s0
	s_and_saveexec_b32 s0, s10
	s_cbranch_execz .LBB11_54
.LBB11_70:
	s_waitcnt lgkmcnt(7)
	v_add_co_u32 v16, vcc_lo, 0x4000, v2
	v_add_co_ci_u32_e32 v17, vcc_lo, 0, v3, vcc_lo
	s_waitcnt lgkmcnt(6)
	global_store_b64 v[16:17], v[14:15], off offset:2048
	s_or_b32 exec_lo, exec_lo, s0
	s_and_saveexec_b32 s0, s11
	s_cbranch_execz .LBB11_55
.LBB11_71:
	s_waitcnt lgkmcnt(6)
	v_add_co_u32 v14, vcc_lo, 0x5000, v2
	v_add_co_ci_u32_e32 v15, vcc_lo, 0, v3, vcc_lo
	s_waitcnt lgkmcnt(5)
	global_store_b64 v[14:15], v[12:13], off
	s_or_b32 exec_lo, exec_lo, s0
	s_and_saveexec_b32 s0, s12
	s_cbranch_execz .LBB11_56
.LBB11_72:
	s_waitcnt lgkmcnt(5)
	v_add_co_u32 v12, vcc_lo, 0x5000, v2
	v_add_co_ci_u32_e32 v13, vcc_lo, 0, v3, vcc_lo
	s_waitcnt lgkmcnt(4)
	global_store_b64 v[12:13], v[10:11], off offset:2048
	s_or_b32 exec_lo, exec_lo, s0
	s_and_saveexec_b32 s0, s13
	s_cbranch_execz .LBB11_57
.LBB11_73:
	s_waitcnt lgkmcnt(4)
	v_add_co_u32 v10, vcc_lo, 0x6000, v2
	v_add_co_ci_u32_e32 v11, vcc_lo, 0, v3, vcc_lo
	s_waitcnt lgkmcnt(3)
	global_store_b64 v[10:11], v[8:9], off
	s_or_b32 exec_lo, exec_lo, s0
	s_and_saveexec_b32 s0, s14
	s_cbranch_execz .LBB11_58
.LBB11_74:
	s_waitcnt lgkmcnt(3)
	v_add_co_u32 v8, vcc_lo, 0x6000, v2
	v_add_co_ci_u32_e32 v9, vcc_lo, 0, v3, vcc_lo
	s_waitcnt lgkmcnt(2)
	global_store_b64 v[8:9], v[6:7], off offset:2048
	s_or_b32 exec_lo, exec_lo, s0
	s_and_saveexec_b32 s0, s15
	s_cbranch_execz .LBB11_59
.LBB11_75:
	s_waitcnt lgkmcnt(2)
	v_add_co_u32 v6, vcc_lo, 0x7000, v2
	v_add_co_ci_u32_e32 v7, vcc_lo, 0, v3, vcc_lo
	s_waitcnt lgkmcnt(1)
	global_store_b64 v[6:7], v[4:5], off
	s_or_b32 exec_lo, exec_lo, s0
	s_and_saveexec_b32 s0, s16
	s_cbranch_execz .LBB11_60
.LBB11_76:
	v_add_co_u32 v2, vcc_lo, 0x7000, v2
	v_add_co_ci_u32_e32 v3, vcc_lo, 0, v3, vcc_lo
	s_waitcnt lgkmcnt(0)
	global_store_b64 v[2:3], v[0:1], off offset:2048
	s_nop 0
	s_sendmsg sendmsg(MSG_DEALLOC_VGPRS)
	s_endpgm
	.section	.rodata,"a",@progbits
	.p2align	6, 0x0
	.amdhsa_kernel _ZN7rocprim17ROCPRIM_304000_NS6detail18single_scan_kernelILb0ENS1_19wrapped_scan_configINS0_14default_configElEEPKlPlSt4plusIvEllEEvT1_mT4_T2_T3_
		.amdhsa_group_segment_fixed_size 33792
		.amdhsa_private_segment_fixed_size 0
		.amdhsa_kernarg_size 36
		.amdhsa_user_sgpr_count 15
		.amdhsa_user_sgpr_dispatch_ptr 0
		.amdhsa_user_sgpr_queue_ptr 0
		.amdhsa_user_sgpr_kernarg_segment_ptr 1
		.amdhsa_user_sgpr_dispatch_id 0
		.amdhsa_user_sgpr_private_segment_size 0
		.amdhsa_wavefront_size32 1
		.amdhsa_uses_dynamic_stack 0
		.amdhsa_enable_private_segment 0
		.amdhsa_system_sgpr_workgroup_id_x 1
		.amdhsa_system_sgpr_workgroup_id_y 0
		.amdhsa_system_sgpr_workgroup_id_z 0
		.amdhsa_system_sgpr_workgroup_info 0
		.amdhsa_system_vgpr_workitem_id 0
		.amdhsa_next_free_vgpr 79
		.amdhsa_next_free_sgpr 68
		.amdhsa_reserve_vcc 1
		.amdhsa_float_round_mode_32 0
		.amdhsa_float_round_mode_16_64 0
		.amdhsa_float_denorm_mode_32 3
		.amdhsa_float_denorm_mode_16_64 3
		.amdhsa_dx10_clamp 1
		.amdhsa_ieee_mode 1
		.amdhsa_fp16_overflow 0
		.amdhsa_workgroup_processor_mode 1
		.amdhsa_memory_ordered 1
		.amdhsa_forward_progress 0
		.amdhsa_shared_vgpr_count 0
		.amdhsa_exception_fp_ieee_invalid_op 0
		.amdhsa_exception_fp_denorm_src 0
		.amdhsa_exception_fp_ieee_div_zero 0
		.amdhsa_exception_fp_ieee_overflow 0
		.amdhsa_exception_fp_ieee_underflow 0
		.amdhsa_exception_fp_ieee_inexact 0
		.amdhsa_exception_int_div_zero 0
	.end_amdhsa_kernel
	.section	.text._ZN7rocprim17ROCPRIM_304000_NS6detail18single_scan_kernelILb0ENS1_19wrapped_scan_configINS0_14default_configElEEPKlPlSt4plusIvEllEEvT1_mT4_T2_T3_,"axG",@progbits,_ZN7rocprim17ROCPRIM_304000_NS6detail18single_scan_kernelILb0ENS1_19wrapped_scan_configINS0_14default_configElEEPKlPlSt4plusIvEllEEvT1_mT4_T2_T3_,comdat
.Lfunc_end11:
	.size	_ZN7rocprim17ROCPRIM_304000_NS6detail18single_scan_kernelILb0ENS1_19wrapped_scan_configINS0_14default_configElEEPKlPlSt4plusIvEllEEvT1_mT4_T2_T3_, .Lfunc_end11-_ZN7rocprim17ROCPRIM_304000_NS6detail18single_scan_kernelILb0ENS1_19wrapped_scan_configINS0_14default_configElEEPKlPlSt4plusIvEllEEvT1_mT4_T2_T3_
                                        ; -- End function
	.section	.AMDGPU.csdata,"",@progbits
; Kernel info:
; codeLenInByte = 4672
; NumSgprs: 70
; NumVgprs: 79
; ScratchSize: 0
; MemoryBound: 1
; FloatMode: 240
; IeeeMode: 1
; LDSByteSize: 33792 bytes/workgroup (compile time only)
; SGPRBlocks: 8
; VGPRBlocks: 9
; NumSGPRsForWavesPerEU: 70
; NumVGPRsForWavesPerEU: 79
; Occupancy: 6
; WaveLimiterHint : 0
; COMPUTE_PGM_RSRC2:SCRATCH_EN: 0
; COMPUTE_PGM_RSRC2:USER_SGPR: 15
; COMPUTE_PGM_RSRC2:TRAP_HANDLER: 0
; COMPUTE_PGM_RSRC2:TGID_X_EN: 1
; COMPUTE_PGM_RSRC2:TGID_Y_EN: 0
; COMPUTE_PGM_RSRC2:TGID_Z_EN: 0
; COMPUTE_PGM_RSRC2:TIDIG_COMP_CNT: 0
	.section	.text._ZN7rocprim17ROCPRIM_304000_NS6detail20lookback_scan_kernelILNS1_25lookback_scan_determinismE0ELb0ENS1_19wrapped_scan_configINS0_14default_configEiEEPKiPlSt4plusIvEiiNS1_19lookback_scan_stateIiLb1ELb1EEEEEvT2_T3_mT5_T4_T7_jPT6_SK_bb,"axG",@progbits,_ZN7rocprim17ROCPRIM_304000_NS6detail20lookback_scan_kernelILNS1_25lookback_scan_determinismE0ELb0ENS1_19wrapped_scan_configINS0_14default_configEiEEPKiPlSt4plusIvEiiNS1_19lookback_scan_stateIiLb1ELb1EEEEEvT2_T3_mT5_T4_T7_jPT6_SK_bb,comdat
	.protected	_ZN7rocprim17ROCPRIM_304000_NS6detail20lookback_scan_kernelILNS1_25lookback_scan_determinismE0ELb0ENS1_19wrapped_scan_configINS0_14default_configEiEEPKiPlSt4plusIvEiiNS1_19lookback_scan_stateIiLb1ELb1EEEEEvT2_T3_mT5_T4_T7_jPT6_SK_bb ; -- Begin function _ZN7rocprim17ROCPRIM_304000_NS6detail20lookback_scan_kernelILNS1_25lookback_scan_determinismE0ELb0ENS1_19wrapped_scan_configINS0_14default_configEiEEPKiPlSt4plusIvEiiNS1_19lookback_scan_stateIiLb1ELb1EEEEEvT2_T3_mT5_T4_T7_jPT6_SK_bb
	.globl	_ZN7rocprim17ROCPRIM_304000_NS6detail20lookback_scan_kernelILNS1_25lookback_scan_determinismE0ELb0ENS1_19wrapped_scan_configINS0_14default_configEiEEPKiPlSt4plusIvEiiNS1_19lookback_scan_stateIiLb1ELb1EEEEEvT2_T3_mT5_T4_T7_jPT6_SK_bb
	.p2align	8
	.type	_ZN7rocprim17ROCPRIM_304000_NS6detail20lookback_scan_kernelILNS1_25lookback_scan_determinismE0ELb0ENS1_19wrapped_scan_configINS0_14default_configEiEEPKiPlSt4plusIvEiiNS1_19lookback_scan_stateIiLb1ELb1EEEEEvT2_T3_mT5_T4_T7_jPT6_SK_bb,@function
_ZN7rocprim17ROCPRIM_304000_NS6detail20lookback_scan_kernelILNS1_25lookback_scan_determinismE0ELb0ENS1_19wrapped_scan_configINS0_14default_configEiEEPKiPlSt4plusIvEiiNS1_19lookback_scan_stateIiLb1ELb1EEEEEvT2_T3_mT5_T4_T7_jPT6_SK_bb: ; @_ZN7rocprim17ROCPRIM_304000_NS6detail20lookback_scan_kernelILNS1_25lookback_scan_determinismE0ELb0ENS1_19wrapped_scan_configINS0_14default_configEiEEPKiPlSt4plusIvEiiNS1_19lookback_scan_stateIiLb1ELb1EEEEEvT2_T3_mT5_T4_T7_jPT6_SK_bb
; %bb.0:
	s_endpgm
	.section	.rodata,"a",@progbits
	.p2align	6, 0x0
	.amdhsa_kernel _ZN7rocprim17ROCPRIM_304000_NS6detail20lookback_scan_kernelILNS1_25lookback_scan_determinismE0ELb0ENS1_19wrapped_scan_configINS0_14default_configEiEEPKiPlSt4plusIvEiiNS1_19lookback_scan_stateIiLb1ELb1EEEEEvT2_T3_mT5_T4_T7_jPT6_SK_bb
		.amdhsa_group_segment_fixed_size 0
		.amdhsa_private_segment_fixed_size 0
		.amdhsa_kernarg_size 68
		.amdhsa_user_sgpr_count 15
		.amdhsa_user_sgpr_dispatch_ptr 0
		.amdhsa_user_sgpr_queue_ptr 0
		.amdhsa_user_sgpr_kernarg_segment_ptr 1
		.amdhsa_user_sgpr_dispatch_id 0
		.amdhsa_user_sgpr_private_segment_size 0
		.amdhsa_wavefront_size32 1
		.amdhsa_uses_dynamic_stack 0
		.amdhsa_enable_private_segment 0
		.amdhsa_system_sgpr_workgroup_id_x 1
		.amdhsa_system_sgpr_workgroup_id_y 0
		.amdhsa_system_sgpr_workgroup_id_z 0
		.amdhsa_system_sgpr_workgroup_info 0
		.amdhsa_system_vgpr_workitem_id 0
		.amdhsa_next_free_vgpr 1
		.amdhsa_next_free_sgpr 1
		.amdhsa_reserve_vcc 0
		.amdhsa_float_round_mode_32 0
		.amdhsa_float_round_mode_16_64 0
		.amdhsa_float_denorm_mode_32 3
		.amdhsa_float_denorm_mode_16_64 3
		.amdhsa_dx10_clamp 1
		.amdhsa_ieee_mode 1
		.amdhsa_fp16_overflow 0
		.amdhsa_workgroup_processor_mode 1
		.amdhsa_memory_ordered 1
		.amdhsa_forward_progress 0
		.amdhsa_shared_vgpr_count 0
		.amdhsa_exception_fp_ieee_invalid_op 0
		.amdhsa_exception_fp_denorm_src 0
		.amdhsa_exception_fp_ieee_div_zero 0
		.amdhsa_exception_fp_ieee_overflow 0
		.amdhsa_exception_fp_ieee_underflow 0
		.amdhsa_exception_fp_ieee_inexact 0
		.amdhsa_exception_int_div_zero 0
	.end_amdhsa_kernel
	.section	.text._ZN7rocprim17ROCPRIM_304000_NS6detail20lookback_scan_kernelILNS1_25lookback_scan_determinismE0ELb0ENS1_19wrapped_scan_configINS0_14default_configEiEEPKiPlSt4plusIvEiiNS1_19lookback_scan_stateIiLb1ELb1EEEEEvT2_T3_mT5_T4_T7_jPT6_SK_bb,"axG",@progbits,_ZN7rocprim17ROCPRIM_304000_NS6detail20lookback_scan_kernelILNS1_25lookback_scan_determinismE0ELb0ENS1_19wrapped_scan_configINS0_14default_configEiEEPKiPlSt4plusIvEiiNS1_19lookback_scan_stateIiLb1ELb1EEEEEvT2_T3_mT5_T4_T7_jPT6_SK_bb,comdat
.Lfunc_end12:
	.size	_ZN7rocprim17ROCPRIM_304000_NS6detail20lookback_scan_kernelILNS1_25lookback_scan_determinismE0ELb0ENS1_19wrapped_scan_configINS0_14default_configEiEEPKiPlSt4plusIvEiiNS1_19lookback_scan_stateIiLb1ELb1EEEEEvT2_T3_mT5_T4_T7_jPT6_SK_bb, .Lfunc_end12-_ZN7rocprim17ROCPRIM_304000_NS6detail20lookback_scan_kernelILNS1_25lookback_scan_determinismE0ELb0ENS1_19wrapped_scan_configINS0_14default_configEiEEPKiPlSt4plusIvEiiNS1_19lookback_scan_stateIiLb1ELb1EEEEEvT2_T3_mT5_T4_T7_jPT6_SK_bb
                                        ; -- End function
	.section	.AMDGPU.csdata,"",@progbits
; Kernel info:
; codeLenInByte = 4
; NumSgprs: 0
; NumVgprs: 0
; ScratchSize: 0
; MemoryBound: 0
; FloatMode: 240
; IeeeMode: 1
; LDSByteSize: 0 bytes/workgroup (compile time only)
; SGPRBlocks: 0
; VGPRBlocks: 0
; NumSGPRsForWavesPerEU: 1
; NumVGPRsForWavesPerEU: 1
; Occupancy: 16
; WaveLimiterHint : 0
; COMPUTE_PGM_RSRC2:SCRATCH_EN: 0
; COMPUTE_PGM_RSRC2:USER_SGPR: 15
; COMPUTE_PGM_RSRC2:TRAP_HANDLER: 0
; COMPUTE_PGM_RSRC2:TGID_X_EN: 1
; COMPUTE_PGM_RSRC2:TGID_Y_EN: 0
; COMPUTE_PGM_RSRC2:TGID_Z_EN: 0
; COMPUTE_PGM_RSRC2:TIDIG_COMP_CNT: 0
	.section	.text._ZN7rocprim17ROCPRIM_304000_NS6detail20lookback_scan_kernelILNS1_25lookback_scan_determinismE0ELb0ENS1_19wrapped_scan_configINS0_14default_configEiEEPKiPlSt4plusIvEiiNS1_19lookback_scan_stateIiLb0ELb1EEEEEvT2_T3_mT5_T4_T7_jPT6_SK_bb,"axG",@progbits,_ZN7rocprim17ROCPRIM_304000_NS6detail20lookback_scan_kernelILNS1_25lookback_scan_determinismE0ELb0ENS1_19wrapped_scan_configINS0_14default_configEiEEPKiPlSt4plusIvEiiNS1_19lookback_scan_stateIiLb0ELb1EEEEEvT2_T3_mT5_T4_T7_jPT6_SK_bb,comdat
	.protected	_ZN7rocprim17ROCPRIM_304000_NS6detail20lookback_scan_kernelILNS1_25lookback_scan_determinismE0ELb0ENS1_19wrapped_scan_configINS0_14default_configEiEEPKiPlSt4plusIvEiiNS1_19lookback_scan_stateIiLb0ELb1EEEEEvT2_T3_mT5_T4_T7_jPT6_SK_bb ; -- Begin function _ZN7rocprim17ROCPRIM_304000_NS6detail20lookback_scan_kernelILNS1_25lookback_scan_determinismE0ELb0ENS1_19wrapped_scan_configINS0_14default_configEiEEPKiPlSt4plusIvEiiNS1_19lookback_scan_stateIiLb0ELb1EEEEEvT2_T3_mT5_T4_T7_jPT6_SK_bb
	.globl	_ZN7rocprim17ROCPRIM_304000_NS6detail20lookback_scan_kernelILNS1_25lookback_scan_determinismE0ELb0ENS1_19wrapped_scan_configINS0_14default_configEiEEPKiPlSt4plusIvEiiNS1_19lookback_scan_stateIiLb0ELb1EEEEEvT2_T3_mT5_T4_T7_jPT6_SK_bb
	.p2align	8
	.type	_ZN7rocprim17ROCPRIM_304000_NS6detail20lookback_scan_kernelILNS1_25lookback_scan_determinismE0ELb0ENS1_19wrapped_scan_configINS0_14default_configEiEEPKiPlSt4plusIvEiiNS1_19lookback_scan_stateIiLb0ELb1EEEEEvT2_T3_mT5_T4_T7_jPT6_SK_bb,@function
_ZN7rocprim17ROCPRIM_304000_NS6detail20lookback_scan_kernelILNS1_25lookback_scan_determinismE0ELb0ENS1_19wrapped_scan_configINS0_14default_configEiEEPKiPlSt4plusIvEiiNS1_19lookback_scan_stateIiLb0ELb1EEEEEvT2_T3_mT5_T4_T7_jPT6_SK_bb: ; @_ZN7rocprim17ROCPRIM_304000_NS6detail20lookback_scan_kernelILNS1_25lookback_scan_determinismE0ELb0ENS1_19wrapped_scan_configINS0_14default_configEiEEPKiPlSt4plusIvEiiNS1_19lookback_scan_stateIiLb0ELb1EEEEEvT2_T3_mT5_T4_T7_jPT6_SK_bb
; %bb.0:
	s_clause 0x2
	s_load_b32 s8, s[0:1], 0x28
	s_load_b64 s[2:3], s[0:1], 0x10
	s_load_b128 s[4:7], s[0:1], 0x0
	s_lshl_b32 s12, s15, 10
	s_mov_b32 s13, 0
	v_lshlrev_b32_e32 v19, 2, v0
	v_lshrrev_b32_e32 v20, 3, v0
	v_or_b32_e32 v49, 64, v0
	v_or_b32_e32 v48, 0x80, v0
	;; [unrolled: 1-line block ×13, first 2 shown]
	s_waitcnt lgkmcnt(0)
	s_add_i32 s8, s8, -1
	v_or_b32_e32 v36, 0x380, v0
	s_lshl_b32 s9, s8, 10
	v_or_b32_e32 v33, 0x3c0, v0
	s_sub_u32 s14, s2, s9
	s_subb_u32 s33, s3, 0
	s_cmp_lg_u32 s15, s8
	s_cselect_b32 s34, -1, 0
	s_lshl_b64 s[2:3], s[12:13], 2
	s_delay_alu instid0(SALU_CYCLE_1)
	s_add_u32 s4, s4, s2
	s_addc_u32 s5, s5, s3
	s_and_b32 vcc_lo, exec_lo, s34
	s_mov_b32 s3, -1
	s_cbranch_vccz .LBB13_2
; %bb.1:
	s_clause 0xf
	global_load_b32 v1, v19, s[4:5]
	global_load_b32 v2, v19, s[4:5] offset:256
	global_load_b32 v3, v19, s[4:5] offset:512
	;; [unrolled: 1-line block ×15, first 2 shown]
	v_lshrrev_b32_e32 v18, 3, v49
	v_lshrrev_b32_e32 v21, 3, v48
	;; [unrolled: 1-line block ×4, first 2 shown]
	v_and_b32_e32 v17, 4, v20
	v_lshrrev_b32_e32 v24, 3, v45
	v_lshrrev_b32_e32 v25, 3, v44
	;; [unrolled: 1-line block ×11, first 2 shown]
	v_and_b32_e32 v18, 12, v18
	v_and_b32_e32 v21, 20, v21
	;; [unrolled: 1-line block ×4, first 2 shown]
	v_add_nc_u32_e32 v17, v17, v19
	v_and_b32_e32 v24, 44, v24
	v_and_b32_e32 v25, 52, v25
	;; [unrolled: 1-line block ×11, first 2 shown]
	v_add_nc_u32_e32 v18, v18, v19
	v_add_nc_u32_e32 v21, v21, v19
	;; [unrolled: 1-line block ×4, first 2 shown]
	s_mov_b32 s3, s13
	v_add_nc_u32_e32 v24, v24, v19
	v_add_nc_u32_e32 v25, v25, v19
	;; [unrolled: 1-line block ×11, first 2 shown]
	s_waitcnt vmcnt(15)
	ds_store_b32 v17, v1
	s_waitcnt vmcnt(14)
	ds_store_b32 v18, v2 offset:256
	s_waitcnt vmcnt(13)
	ds_store_b32 v21, v3 offset:512
	;; [unrolled: 2-line block ×15, first 2 shown]
	s_waitcnt lgkmcnt(0)
	s_barrier
.LBB13_2:
	v_cmp_gt_u32_e64 s2, s14, v0
	s_and_not1_b32 vcc_lo, exec_lo, s3
	s_cbranch_vccnz .LBB13_21
; %bb.3:
	s_load_b32 s16, s[4:5], 0x0
	v_add_co_u32 v17, s3, s4, v19
	s_delay_alu instid0(VALU_DEP_1)
	v_add_co_ci_u32_e64 v18, null, s5, 0, s3
	s_waitcnt lgkmcnt(0)
	s_mov_b32 s17, s16
	s_mov_b32 s18, s16
	;; [unrolled: 1-line block ×15, first 2 shown]
	v_dual_mov_b32 v1, s16 :: v_dual_mov_b32 v2, s17
	v_dual_mov_b32 v3, s18 :: v_dual_mov_b32 v4, s19
	;; [unrolled: 1-line block ×8, first 2 shown]
	v_mov_b32_e32 v21, s16
	s_and_saveexec_b32 s3, s2
	s_cbranch_execnz .LBB13_132
; %bb.4:
	s_or_b32 exec_lo, exec_lo, s3
	s_delay_alu instid0(SALU_CYCLE_1)
	s_mov_b32 s2, exec_lo
	v_cmpx_gt_u32_e64 s14, v49
	s_cbranch_execnz .LBB13_133
.LBB13_5:
	s_or_b32 exec_lo, exec_lo, s2
	s_delay_alu instid0(SALU_CYCLE_1)
	s_mov_b32 s2, exec_lo
	v_cmpx_gt_u32_e64 s14, v48
	s_cbranch_execnz .LBB13_134
.LBB13_6:
	s_or_b32 exec_lo, exec_lo, s2
	s_delay_alu instid0(SALU_CYCLE_1)
	s_mov_b32 s2, exec_lo
	v_cmpx_gt_u32_e64 s14, v47
	s_cbranch_execnz .LBB13_135
.LBB13_7:
	s_or_b32 exec_lo, exec_lo, s2
	s_delay_alu instid0(SALU_CYCLE_1)
	s_mov_b32 s2, exec_lo
	v_cmpx_gt_u32_e64 s14, v46
	s_cbranch_execnz .LBB13_136
.LBB13_8:
	s_or_b32 exec_lo, exec_lo, s2
	s_delay_alu instid0(SALU_CYCLE_1)
	s_mov_b32 s2, exec_lo
	v_cmpx_gt_u32_e64 s14, v45
	s_cbranch_execnz .LBB13_137
.LBB13_9:
	s_or_b32 exec_lo, exec_lo, s2
	s_delay_alu instid0(SALU_CYCLE_1)
	s_mov_b32 s2, exec_lo
	v_cmpx_gt_u32_e64 s14, v44
	s_cbranch_execnz .LBB13_138
.LBB13_10:
	s_or_b32 exec_lo, exec_lo, s2
	s_delay_alu instid0(SALU_CYCLE_1)
	s_mov_b32 s2, exec_lo
	v_cmpx_gt_u32_e64 s14, v43
	s_cbranch_execnz .LBB13_139
.LBB13_11:
	s_or_b32 exec_lo, exec_lo, s2
	s_delay_alu instid0(SALU_CYCLE_1)
	s_mov_b32 s2, exec_lo
	v_cmpx_gt_u32_e64 s14, v42
	s_cbranch_execnz .LBB13_140
.LBB13_12:
	s_or_b32 exec_lo, exec_lo, s2
	s_delay_alu instid0(SALU_CYCLE_1)
	s_mov_b32 s2, exec_lo
	v_cmpx_gt_u32_e64 s14, v41
	s_cbranch_execnz .LBB13_141
.LBB13_13:
	s_or_b32 exec_lo, exec_lo, s2
	s_delay_alu instid0(SALU_CYCLE_1)
	s_mov_b32 s2, exec_lo
	v_cmpx_gt_u32_e64 s14, v40
	s_cbranch_execnz .LBB13_142
.LBB13_14:
	s_or_b32 exec_lo, exec_lo, s2
	s_delay_alu instid0(SALU_CYCLE_1)
	s_mov_b32 s2, exec_lo
	v_cmpx_gt_u32_e64 s14, v39
	s_cbranch_execnz .LBB13_143
.LBB13_15:
	s_or_b32 exec_lo, exec_lo, s2
	s_delay_alu instid0(SALU_CYCLE_1)
	s_mov_b32 s2, exec_lo
	v_cmpx_gt_u32_e64 s14, v38
	s_cbranch_execnz .LBB13_144
.LBB13_16:
	s_or_b32 exec_lo, exec_lo, s2
	s_delay_alu instid0(SALU_CYCLE_1)
	s_mov_b32 s2, exec_lo
	v_cmpx_gt_u32_e64 s14, v37
	s_cbranch_execnz .LBB13_145
.LBB13_17:
	s_or_b32 exec_lo, exec_lo, s2
	s_delay_alu instid0(SALU_CYCLE_1)
	s_mov_b32 s2, exec_lo
	v_cmpx_gt_u32_e64 s14, v36
	s_cbranch_execnz .LBB13_146
.LBB13_18:
	s_or_b32 exec_lo, exec_lo, s2
	s_delay_alu instid0(SALU_CYCLE_1)
	s_mov_b32 s2, exec_lo
	v_cmpx_gt_u32_e64 s14, v33
	s_cbranch_execz .LBB13_20
.LBB13_19:
	global_load_b32 v16, v[17:18], off offset:3840
.LBB13_20:
	s_or_b32 exec_lo, exec_lo, s2
	v_lshrrev_b32_e32 v1, 3, v49
	v_lshrrev_b32_e32 v17, 3, v48
	v_and_b32_e32 v18, 4, v20
	v_lshrrev_b32_e32 v20, 3, v47
	v_lshrrev_b32_e32 v22, 3, v46
	;; [unrolled: 1-line block ×5, first 2 shown]
	v_and_b32_e32 v1, 12, v1
	v_and_b32_e32 v17, 28, v17
	;; [unrolled: 1-line block ×4, first 2 shown]
	v_add_nc_u32_e32 v18, v18, v19
	v_and_b32_e32 v23, 60, v23
	v_and_b32_e32 v24, 60, v24
	;; [unrolled: 1-line block ×3, first 2 shown]
	v_add_nc_u32_e32 v1, v1, v19
	v_add_nc_u32_e32 v17, v17, v19
	v_lshrrev_b32_e32 v26, 3, v42
	v_add_nc_u32_e32 v20, v20, v19
	v_lshrrev_b32_e32 v27, 3, v41
	;; [unrolled: 2-line block ×3, first 2 shown]
	v_add_nc_u32_e32 v23, v23, v19
	v_add_nc_u32_e32 v24, v24, v19
	;; [unrolled: 1-line block ×3, first 2 shown]
	s_waitcnt vmcnt(0)
	ds_store_b32 v18, v21
	ds_store_b32 v1, v2 offset:256
	ds_store_b32 v17, v3 offset:512
	;; [unrolled: 1-line block ×7, first 2 shown]
	v_lshrrev_b32_e32 v4, 3, v39
	v_lshrrev_b32_e32 v5, 3, v38
	v_and_b32_e32 v26, 0x7c, v26
	v_lshrrev_b32_e32 v6, 3, v37
	v_lshrrev_b32_e32 v7, 3, v36
	;; [unrolled: 1-line block ×3, first 2 shown]
	v_and_b32_e32 v27, 0x7c, v27
	v_and_b32_e32 v28, 0x7c, v28
	;; [unrolled: 1-line block ×4, first 2 shown]
	v_add_nc_u32_e32 v1, v26, v19
	v_and_b32_e32 v6, 0x7c, v6
	v_and_b32_e32 v7, 0x7c, v7
	;; [unrolled: 1-line block ×3, first 2 shown]
	v_add_nc_u32_e32 v2, v27, v19
	v_add_nc_u32_e32 v3, v28, v19
	;; [unrolled: 1-line block ×7, first 2 shown]
	ds_store_b32 v1, v9 offset:2048
	ds_store_b32 v2, v10 offset:2304
	;; [unrolled: 1-line block ×8, first 2 shown]
	s_waitcnt lgkmcnt(0)
	s_barrier
.LBB13_21:
	v_lshlrev_b32_e32 v1, 4, v0
	v_lshrrev_b32_e32 v35, 1, v0
	buffer_gl0_inv
	s_load_b64 s[4:5], s[0:1], 0x20
	v_lshrrev_b32_e32 v34, 5, v0
	v_cmp_gt_u32_e32 vcc_lo, 32, v0
	v_add_lshl_u32 v1, v35, v1, 2
	s_cmp_lg_u32 s15, 0
	ds_load_2addr_b32 v[29:30], v1 offset1:1
	ds_load_2addr_b32 v[31:32], v1 offset0:2 offset1:3
	ds_load_2addr_b32 v[27:28], v1 offset0:4 offset1:5
	ds_load_2addr_b32 v[25:26], v1 offset0:6 offset1:7
	ds_load_2addr_b32 v[23:24], v1 offset0:8 offset1:9
	ds_load_2addr_b32 v[21:22], v1 offset0:10 offset1:11
	ds_load_2addr_b32 v[19:20], v1 offset0:12 offset1:13
	ds_load_2addr_b32 v[17:18], v1 offset0:14 offset1:15
	s_waitcnt lgkmcnt(0)
	s_barrier
	buffer_gl0_inv
	s_cbranch_scc0 .LBB13_46
; %bb.22:
	v_add_nc_u32_e32 v1, v30, v29
	v_add_lshl_u32 v2, v34, v0, 2
	s_delay_alu instid0(VALU_DEP_2) | instskip(NEXT) | instid1(VALU_DEP_1)
	v_add3_u32 v1, v1, v31, v32
	v_add3_u32 v1, v1, v27, v28
	s_delay_alu instid0(VALU_DEP_1) | instskip(NEXT) | instid1(VALU_DEP_1)
	v_add3_u32 v1, v1, v25, v26
	v_add3_u32 v1, v1, v23, v24
	s_delay_alu instid0(VALU_DEP_1) | instskip(NEXT) | instid1(VALU_DEP_1)
	v_add3_u32 v1, v1, v21, v22
	v_add3_u32 v1, v1, v19, v20
	s_delay_alu instid0(VALU_DEP_1)
	v_add3_u32 v1, v1, v17, v18
	ds_store_b32 v2, v1
	s_waitcnt lgkmcnt(0)
	s_barrier
	buffer_gl0_inv
	s_and_saveexec_b32 s3, vcc_lo
	s_cbranch_execz .LBB13_24
; %bb.23:
	v_lshrrev_b32_e32 v2, 2, v0
	v_mbcnt_lo_u32_b32 v5, -1, 0
	s_delay_alu instid0(VALU_DEP_2) | instskip(NEXT) | instid1(VALU_DEP_2)
	v_and_b32_e32 v2, 12, v2
	v_and_b32_e32 v7, 15, v5
	v_add_nc_u32_e32 v9, -1, v5
	s_delay_alu instid0(VALU_DEP_3) | instskip(NEXT) | instid1(VALU_DEP_3)
	v_lshl_or_b32 v4, v0, 3, v2
	v_cmp_ne_u32_e64 s2, 0, v7
	ds_load_2addr_b32 v[2:3], v4 offset1:1
	s_waitcnt lgkmcnt(0)
	v_add_nc_u32_e32 v6, v3, v2
	s_delay_alu instid0(VALU_DEP_1) | instskip(NEXT) | instid1(VALU_DEP_1)
	v_mov_b32_dpp v8, v6 row_shr:1 row_mask:0xf bank_mask:0xf
	v_cndmask_b32_e64 v8, 0, v8, s2
	v_cmp_lt_u32_e64 s2, 1, v7
	s_delay_alu instid0(VALU_DEP_2) | instskip(NEXT) | instid1(VALU_DEP_1)
	v_add_nc_u32_e32 v6, v8, v6
	v_mov_b32_dpp v8, v6 row_shr:2 row_mask:0xf bank_mask:0xf
	s_delay_alu instid0(VALU_DEP_1) | instskip(SKIP_1) | instid1(VALU_DEP_2)
	v_cndmask_b32_e64 v8, 0, v8, s2
	v_cmp_lt_u32_e64 s2, 3, v7
	v_add_nc_u32_e32 v6, v6, v8
	s_delay_alu instid0(VALU_DEP_1) | instskip(NEXT) | instid1(VALU_DEP_1)
	v_mov_b32_dpp v8, v6 row_shr:4 row_mask:0xf bank_mask:0xf
	v_cndmask_b32_e64 v8, 0, v8, s2
	v_cmp_lt_u32_e64 s2, 7, v7
	s_delay_alu instid0(VALU_DEP_2) | instskip(NEXT) | instid1(VALU_DEP_1)
	v_add_nc_u32_e32 v6, v6, v8
	v_mov_b32_dpp v8, v6 row_shr:8 row_mask:0xf bank_mask:0xf
	s_delay_alu instid0(VALU_DEP_1) | instskip(SKIP_2) | instid1(VALU_DEP_3)
	v_cndmask_b32_e64 v7, 0, v8, s2
	v_bfe_i32 v8, v5, 4, 1
	v_cmp_gt_i32_e64 s2, 0, v9
	v_add_nc_u32_e32 v6, v6, v7
	s_delay_alu instid0(VALU_DEP_2)
	v_cndmask_b32_e64 v5, v9, v5, s2
	v_cmp_eq_u32_e64 s2, 0, v0
	ds_swizzle_b32 v7, v6 offset:swizzle(BROADCAST,32,15)
	v_lshlrev_b32_e32 v5, 2, v5
	s_waitcnt lgkmcnt(0)
	v_and_b32_e32 v7, v8, v7
	s_delay_alu instid0(VALU_DEP_1) | instskip(SKIP_3) | instid1(VALU_DEP_1)
	v_add_nc_u32_e32 v6, v6, v7
	ds_bpermute_b32 v5, v5, v6
	s_waitcnt lgkmcnt(0)
	v_add_nc_u32_e32 v2, v5, v2
	v_cndmask_b32_e64 v1, v2, v1, s2
	s_delay_alu instid0(VALU_DEP_1)
	v_add_nc_u32_e32 v2, v1, v3
	ds_store_2addr_b32 v4, v1, v2 offset1:1
.LBB13_24:
	s_or_b32 exec_lo, exec_lo, s3
	v_cmp_eq_u32_e64 s2, 0, v0
	v_mov_b32_e32 v8, 0
	s_mov_b32 s8, exec_lo
	s_waitcnt lgkmcnt(0)
	s_barrier
	buffer_gl0_inv
	v_cmpx_ne_u32_e32 0, v0
	s_cbranch_execz .LBB13_26
; %bb.25:
	v_add_nc_u32_e32 v1, -1, v0
	s_delay_alu instid0(VALU_DEP_1) | instskip(NEXT) | instid1(VALU_DEP_1)
	v_lshrrev_b32_e32 v2, 5, v1
	v_add_lshl_u32 v1, v2, v1, 2
	ds_load_b32 v8, v1
.LBB13_26:
	s_or_b32 exec_lo, exec_lo, s8
	s_and_saveexec_b32 s10, vcc_lo
	s_cbranch_execz .LBB13_45
; %bb.27:
	v_mov_b32_e32 v4, 0
	v_mbcnt_lo_u32_b32 v16, -1, 0
	s_mov_b32 s9, 0
	ds_load_b32 v1, v4 offset:256
	v_cmp_eq_u32_e64 s3, 0, v16
	s_delay_alu instid0(VALU_DEP_1)
	s_and_saveexec_b32 s11, s3
	s_cbranch_execz .LBB13_29
; %bb.28:
	s_add_i32 s8, s15, 32
	v_mov_b32_e32 v2, 1
	s_lshl_b64 s[8:9], s[8:9], 3
	s_delay_alu instid0(SALU_CYCLE_1)
	s_add_u32 s8, s4, s8
	s_addc_u32 s9, s5, s9
	s_waitcnt lgkmcnt(0)
	global_store_b64 v4, v[1:2], s[8:9]
.LBB13_29:
	s_or_b32 exec_lo, exec_lo, s11
	v_xad_u32 v2, v16, -1, s15
	s_mov_b32 s8, exec_lo
	s_delay_alu instid0(VALU_DEP_1) | instskip(NEXT) | instid1(VALU_DEP_1)
	v_add_nc_u32_e32 v3, 32, v2
	v_lshlrev_b64 v[3:4], 3, v[3:4]
	s_delay_alu instid0(VALU_DEP_1) | instskip(NEXT) | instid1(VALU_DEP_2)
	v_add_co_u32 v6, vcc_lo, s4, v3
	v_add_co_ci_u32_e32 v7, vcc_lo, s5, v4, vcc_lo
	global_load_b64 v[4:5], v[6:7], off glc
	s_waitcnt vmcnt(0)
	v_and_b32_e32 v3, 0xff, v5
	s_delay_alu instid0(VALU_DEP_1)
	v_cmpx_eq_u16_e32 0, v3
	s_cbranch_execz .LBB13_33
; %bb.30:
	s_mov_b32 s9, 0
.LBB13_31:                              ; =>This Inner Loop Header: Depth=1
	global_load_b64 v[4:5], v[6:7], off glc
	s_waitcnt vmcnt(0)
	v_and_b32_e32 v3, 0xff, v5
	s_delay_alu instid0(VALU_DEP_1) | instskip(SKIP_1) | instid1(SALU_CYCLE_1)
	v_cmp_ne_u16_e32 vcc_lo, 0, v3
	s_or_b32 s9, vcc_lo, s9
	s_and_not1_b32 exec_lo, exec_lo, s9
	s_cbranch_execnz .LBB13_31
; %bb.32:
	s_or_b32 exec_lo, exec_lo, s9
.LBB13_33:
	s_delay_alu instid0(SALU_CYCLE_1)
	s_or_b32 exec_lo, exec_lo, s8
	v_cmp_ne_u32_e32 vcc_lo, 31, v16
	v_lshlrev_b32_e64 v10, v16, -1
	v_add_nc_u32_e32 v11, 1, v16
	v_add_nc_u32_e32 v13, 2, v16
	;; [unrolled: 1-line block ×3, first 2 shown]
	v_add_co_ci_u32_e32 v3, vcc_lo, 0, v16, vcc_lo
	v_add_nc_u32_e32 v51, 8, v16
	v_add_nc_u32_e32 v53, 16, v16
	s_delay_alu instid0(VALU_DEP_3)
	v_lshlrev_b32_e32 v9, 2, v3
	v_and_b32_e32 v3, 0xff, v5
	ds_bpermute_b32 v6, v9, v4
	v_cmp_eq_u16_e32 vcc_lo, 2, v3
	v_and_or_b32 v3, vcc_lo, v10, 0x80000000
	v_cmp_gt_u32_e32 vcc_lo, 30, v16
	s_delay_alu instid0(VALU_DEP_2) | instskip(SKIP_1) | instid1(VALU_DEP_2)
	v_ctz_i32_b32_e32 v3, v3
	v_cndmask_b32_e64 v7, 0, 1, vcc_lo
	v_cmp_le_u32_e32 vcc_lo, v11, v3
	s_waitcnt lgkmcnt(0)
	s_delay_alu instid0(VALU_DEP_2) | instskip(NEXT) | instid1(VALU_DEP_1)
	v_dual_cndmask_b32 v6, 0, v6 :: v_dual_lshlrev_b32 v7, 1, v7
	v_add_lshl_u32 v12, v7, v16, 2
	v_cmp_gt_u32_e32 vcc_lo, 28, v16
	s_delay_alu instid0(VALU_DEP_3) | instskip(SKIP_4) | instid1(VALU_DEP_1)
	v_add_nc_u32_e32 v4, v6, v4
	v_cndmask_b32_e64 v7, 0, 1, vcc_lo
	v_cmp_le_u32_e32 vcc_lo, v13, v3
	ds_bpermute_b32 v6, v12, v4
	v_lshlrev_b32_e32 v7, 2, v7
	v_add_lshl_u32 v14, v7, v16, 2
	s_waitcnt lgkmcnt(0)
	v_cndmask_b32_e32 v6, 0, v6, vcc_lo
	v_cmp_gt_u32_e32 vcc_lo, 24, v16
	s_delay_alu instid0(VALU_DEP_2) | instskip(SKIP_4) | instid1(VALU_DEP_1)
	v_add_nc_u32_e32 v4, v4, v6
	v_cndmask_b32_e64 v7, 0, 1, vcc_lo
	v_cmp_le_u32_e32 vcc_lo, v15, v3
	ds_bpermute_b32 v6, v14, v4
	v_lshlrev_b32_e32 v7, 3, v7
	v_add_lshl_u32 v50, v7, v16, 2
	s_waitcnt lgkmcnt(0)
	v_cndmask_b32_e32 v6, 0, v6, vcc_lo
	v_cmp_gt_u32_e32 vcc_lo, 16, v16
	s_delay_alu instid0(VALU_DEP_2) | instskip(SKIP_4) | instid1(VALU_DEP_1)
	v_add_nc_u32_e32 v4, v4, v6
	v_cndmask_b32_e64 v7, 0, 1, vcc_lo
	v_cmp_le_u32_e32 vcc_lo, v51, v3
	ds_bpermute_b32 v6, v50, v4
	v_lshlrev_b32_e32 v7, 4, v7
	v_add_lshl_u32 v52, v7, v16, 2
	s_waitcnt lgkmcnt(0)
	v_cndmask_b32_e32 v6, 0, v6, vcc_lo
	v_cmp_le_u32_e32 vcc_lo, v53, v3
	s_delay_alu instid0(VALU_DEP_2) | instskip(SKIP_3) | instid1(VALU_DEP_1)
	v_add_nc_u32_e32 v4, v4, v6
	ds_bpermute_b32 v6, v52, v4
	s_waitcnt lgkmcnt(0)
	v_cndmask_b32_e32 v3, 0, v6, vcc_lo
	v_dual_mov_b32 v3, 0 :: v_dual_add_nc_u32 v4, v4, v3
	s_branch .LBB13_35
.LBB13_34:                              ;   in Loop: Header=BB13_35 Depth=1
	s_or_b32 exec_lo, exec_lo, s8
	ds_bpermute_b32 v7, v9, v4
	v_and_b32_e32 v6, 0xff, v5
	v_subrev_nc_u32_e32 v2, 32, v2
	s_delay_alu instid0(VALU_DEP_2) | instskip(SKIP_1) | instid1(VALU_DEP_1)
	v_cmp_eq_u16_e32 vcc_lo, 2, v6
	v_and_or_b32 v6, vcc_lo, v10, 0x80000000
	v_ctz_i32_b32_e32 v6, v6
	s_delay_alu instid0(VALU_DEP_1) | instskip(SKIP_3) | instid1(VALU_DEP_2)
	v_cmp_le_u32_e32 vcc_lo, v11, v6
	s_waitcnt lgkmcnt(0)
	v_cndmask_b32_e32 v7, 0, v7, vcc_lo
	v_cmp_le_u32_e32 vcc_lo, v13, v6
	v_add_nc_u32_e32 v4, v7, v4
	ds_bpermute_b32 v7, v12, v4
	s_waitcnt lgkmcnt(0)
	v_cndmask_b32_e32 v7, 0, v7, vcc_lo
	v_cmp_le_u32_e32 vcc_lo, v15, v6
	s_delay_alu instid0(VALU_DEP_2) | instskip(SKIP_4) | instid1(VALU_DEP_2)
	v_add_nc_u32_e32 v4, v4, v7
	ds_bpermute_b32 v7, v14, v4
	s_waitcnt lgkmcnt(0)
	v_cndmask_b32_e32 v7, 0, v7, vcc_lo
	v_cmp_le_u32_e32 vcc_lo, v51, v6
	v_add_nc_u32_e32 v4, v4, v7
	ds_bpermute_b32 v7, v50, v4
	s_waitcnt lgkmcnt(0)
	v_cndmask_b32_e32 v7, 0, v7, vcc_lo
	v_cmp_le_u32_e32 vcc_lo, v53, v6
	s_delay_alu instid0(VALU_DEP_2) | instskip(SKIP_3) | instid1(VALU_DEP_1)
	v_add_nc_u32_e32 v4, v4, v7
	ds_bpermute_b32 v7, v52, v4
	s_waitcnt lgkmcnt(0)
	v_cndmask_b32_e32 v6, 0, v7, vcc_lo
	v_add3_u32 v4, v6, v16, v4
.LBB13_35:                              ; =>This Loop Header: Depth=1
                                        ;     Child Loop BB13_38 Depth 2
	s_delay_alu instid0(VALU_DEP_1) | instskip(NEXT) | instid1(VALU_DEP_1)
	v_dual_mov_b32 v16, v4 :: v_dual_and_b32 v5, 0xff, v5
	v_cmp_ne_u16_e32 vcc_lo, 2, v5
	v_cndmask_b32_e64 v5, 0, 1, vcc_lo
	;;#ASMSTART
	;;#ASMEND
	s_delay_alu instid0(VALU_DEP_1)
	v_cmp_ne_u32_e32 vcc_lo, 0, v5
	s_cmp_lg_u32 vcc_lo, exec_lo
	s_cbranch_scc1 .LBB13_40
; %bb.36:                               ;   in Loop: Header=BB13_35 Depth=1
	v_lshlrev_b64 v[4:5], 3, v[2:3]
	s_mov_b32 s8, exec_lo
	s_delay_alu instid0(VALU_DEP_1) | instskip(NEXT) | instid1(VALU_DEP_2)
	v_add_co_u32 v6, vcc_lo, s4, v4
	v_add_co_ci_u32_e32 v7, vcc_lo, s5, v5, vcc_lo
	global_load_b64 v[4:5], v[6:7], off glc
	s_waitcnt vmcnt(0)
	v_and_b32_e32 v54, 0xff, v5
	s_delay_alu instid0(VALU_DEP_1)
	v_cmpx_eq_u16_e32 0, v54
	s_cbranch_execz .LBB13_34
; %bb.37:                               ;   in Loop: Header=BB13_35 Depth=1
	s_mov_b32 s9, 0
.LBB13_38:                              ;   Parent Loop BB13_35 Depth=1
                                        ; =>  This Inner Loop Header: Depth=2
	global_load_b64 v[4:5], v[6:7], off glc
	s_waitcnt vmcnt(0)
	v_and_b32_e32 v54, 0xff, v5
	s_delay_alu instid0(VALU_DEP_1) | instskip(SKIP_1) | instid1(SALU_CYCLE_1)
	v_cmp_ne_u16_e32 vcc_lo, 0, v54
	s_or_b32 s9, vcc_lo, s9
	s_and_not1_b32 exec_lo, exec_lo, s9
	s_cbranch_execnz .LBB13_38
; %bb.39:                               ;   in Loop: Header=BB13_35 Depth=1
	s_or_b32 exec_lo, exec_lo, s9
	s_branch .LBB13_34
.LBB13_40:                              ;   in Loop: Header=BB13_35 Depth=1
                                        ; implicit-def: $vgpr4
                                        ; implicit-def: $vgpr5
	s_cbranch_execz .LBB13_35
; %bb.41:
	s_and_saveexec_b32 s8, s3
	s_cbranch_execz .LBB13_43
; %bb.42:
	s_add_i32 s16, s15, 32
	s_mov_b32 s17, 0
	v_dual_mov_b32 v3, 0 :: v_dual_mov_b32 v2, 2
	s_lshl_b64 s[16:17], s[16:17], 3
	v_add_nc_u32_e32 v1, v16, v1
	s_add_u32 s16, s4, s16
	s_addc_u32 s17, s5, s17
	global_store_b64 v3, v[1:2], s[16:17]
.LBB13_43:
	s_or_b32 exec_lo, exec_lo, s8
	s_delay_alu instid0(SALU_CYCLE_1)
	s_and_b32 exec_lo, exec_lo, s2
	s_cbranch_execz .LBB13_45
; %bb.44:
	v_mov_b32_e32 v1, 0
	ds_store_b32 v1, v16
.LBB13_45:
	s_or_b32 exec_lo, exec_lo, s10
	v_mov_b32_e32 v1, 0
	s_waitcnt lgkmcnt(0)
	s_waitcnt_vscnt null, 0x0
	s_barrier
	buffer_gl0_inv
	ds_load_b32 v1, v1
	s_waitcnt lgkmcnt(0)
	v_add3_u32 v1, v8, v29, v1
	s_delay_alu instid0(VALU_DEP_1) | instskip(NEXT) | instid1(VALU_DEP_1)
	v_add_nc_u32_e32 v2, v1, v30
	v_add_nc_u32_e32 v3, v2, v31
	s_delay_alu instid0(VALU_DEP_1) | instskip(NEXT) | instid1(VALU_DEP_1)
	v_add_nc_u32_e32 v4, v3, v32
	v_add_nc_u32_e32 v5, v4, v27
	;; [unrolled: 3-line block ×7, first 2 shown]
	s_delay_alu instid0(VALU_DEP_1)
	v_add_nc_u32_e32 v16, v15, v18
	s_load_b128 s[8:11], s[0:1], 0x30
	s_branch .LBB13_56
.LBB13_46:
                                        ; implicit-def: $vgpr1_vgpr2_vgpr3_vgpr4_vgpr5_vgpr6_vgpr7_vgpr8_vgpr9_vgpr10_vgpr11_vgpr12_vgpr13_vgpr14_vgpr15_vgpr16
	s_load_b128 s[8:11], s[0:1], 0x30
	s_cbranch_execz .LBB13_56
; %bb.47:
	s_load_b32 s2, s[0:1], 0x40
	v_cmp_eq_u32_e32 vcc_lo, 0, v0
	s_waitcnt lgkmcnt(0)
	s_bitcmp1_b32 s2, 0
	v_cmp_ne_u32_e64 s2, 0, v0
	s_cselect_b32 s3, -1, 0
	s_delay_alu instid0(SALU_CYCLE_1) | instskip(NEXT) | instid1(SALU_CYCLE_1)
	s_and_b32 s15, vcc_lo, s3
	s_and_saveexec_b32 s3, s15
	s_cbranch_execz .LBB13_49
; %bb.48:
	s_load_b32 s8, s[8:9], 0x0
	s_waitcnt lgkmcnt(0)
	v_add_nc_u32_e32 v29, s8, v29
.LBB13_49:
	s_or_b32 exec_lo, exec_lo, s3
	s_delay_alu instid0(VALU_DEP_1) | instskip(SKIP_2) | instid1(VALU_DEP_2)
	v_add_nc_u32_e32 v1, v30, v29
	v_add_lshl_u32 v2, v34, v0, 2
	s_mov_b32 s8, exec_lo
	v_add3_u32 v1, v1, v31, v32
	s_delay_alu instid0(VALU_DEP_1) | instskip(NEXT) | instid1(VALU_DEP_1)
	v_add3_u32 v1, v1, v27, v28
	v_add3_u32 v1, v1, v25, v26
	s_delay_alu instid0(VALU_DEP_1) | instskip(NEXT) | instid1(VALU_DEP_1)
	v_add3_u32 v1, v1, v23, v24
	;; [unrolled: 3-line block ×3, first 2 shown]
	v_add3_u32 v1, v1, v17, v18
	ds_store_b32 v2, v1
	s_waitcnt lgkmcnt(0)
	s_barrier
	buffer_gl0_inv
	v_cmpx_gt_u32_e32 32, v0
	s_cbranch_execz .LBB13_51
; %bb.50:
	v_lshrrev_b32_e32 v2, 2, v0
	v_mbcnt_lo_u32_b32 v5, -1, 0
	s_delay_alu instid0(VALU_DEP_2) | instskip(NEXT) | instid1(VALU_DEP_2)
	v_and_b32_e32 v2, 12, v2
	v_and_b32_e32 v7, 15, v5
	v_add_nc_u32_e32 v9, -1, v5
	s_delay_alu instid0(VALU_DEP_3) | instskip(NEXT) | instid1(VALU_DEP_3)
	v_lshl_or_b32 v4, v0, 3, v2
	v_cmp_ne_u32_e64 s3, 0, v7
	ds_load_2addr_b32 v[2:3], v4 offset1:1
	s_waitcnt lgkmcnt(0)
	v_add_nc_u32_e32 v6, v3, v2
	s_delay_alu instid0(VALU_DEP_1) | instskip(NEXT) | instid1(VALU_DEP_1)
	v_mov_b32_dpp v8, v6 row_shr:1 row_mask:0xf bank_mask:0xf
	v_cndmask_b32_e64 v8, 0, v8, s3
	v_cmp_lt_u32_e64 s3, 1, v7
	s_delay_alu instid0(VALU_DEP_2) | instskip(NEXT) | instid1(VALU_DEP_1)
	v_add_nc_u32_e32 v6, v8, v6
	v_mov_b32_dpp v8, v6 row_shr:2 row_mask:0xf bank_mask:0xf
	s_delay_alu instid0(VALU_DEP_1) | instskip(SKIP_1) | instid1(VALU_DEP_2)
	v_cndmask_b32_e64 v8, 0, v8, s3
	v_cmp_lt_u32_e64 s3, 3, v7
	v_add_nc_u32_e32 v6, v6, v8
	s_delay_alu instid0(VALU_DEP_1) | instskip(NEXT) | instid1(VALU_DEP_1)
	v_mov_b32_dpp v8, v6 row_shr:4 row_mask:0xf bank_mask:0xf
	v_cndmask_b32_e64 v8, 0, v8, s3
	v_cmp_lt_u32_e64 s3, 7, v7
	s_delay_alu instid0(VALU_DEP_2) | instskip(NEXT) | instid1(VALU_DEP_1)
	v_add_nc_u32_e32 v6, v6, v8
	v_mov_b32_dpp v8, v6 row_shr:8 row_mask:0xf bank_mask:0xf
	s_delay_alu instid0(VALU_DEP_1) | instskip(SKIP_2) | instid1(VALU_DEP_3)
	v_cndmask_b32_e64 v7, 0, v8, s3
	v_bfe_i32 v8, v5, 4, 1
	v_cmp_gt_i32_e64 s3, 0, v9
	v_add_nc_u32_e32 v6, v6, v7
	s_delay_alu instid0(VALU_DEP_2) | instskip(SKIP_4) | instid1(VALU_DEP_1)
	v_cndmask_b32_e64 v5, v9, v5, s3
	ds_swizzle_b32 v7, v6 offset:swizzle(BROADCAST,32,15)
	v_lshlrev_b32_e32 v5, 2, v5
	s_waitcnt lgkmcnt(0)
	v_and_b32_e32 v7, v8, v7
	v_add_nc_u32_e32 v6, v6, v7
	ds_bpermute_b32 v5, v5, v6
	s_waitcnt lgkmcnt(0)
	v_add_nc_u32_e32 v2, v5, v2
	s_delay_alu instid0(VALU_DEP_1) | instskip(NEXT) | instid1(VALU_DEP_1)
	v_cndmask_b32_e32 v1, v2, v1, vcc_lo
	v_add_nc_u32_e32 v2, v1, v3
	ds_store_2addr_b32 v4, v1, v2 offset1:1
.LBB13_51:
	s_or_b32 exec_lo, exec_lo, s8
	v_mov_b32_e32 v1, 0
	s_waitcnt lgkmcnt(0)
	s_barrier
	buffer_gl0_inv
	s_and_saveexec_b32 s3, s2
	s_cbranch_execz .LBB13_53
; %bb.52:
	v_add_nc_u32_e32 v1, -1, v0
	s_delay_alu instid0(VALU_DEP_1) | instskip(NEXT) | instid1(VALU_DEP_1)
	v_lshrrev_b32_e32 v2, 5, v1
	v_add_lshl_u32 v1, v2, v1, 2
	ds_load_b32 v1, v1
.LBB13_53:
	s_or_b32 exec_lo, exec_lo, s3
	s_waitcnt lgkmcnt(0)
	v_add_nc_u32_e32 v1, v1, v29
	s_delay_alu instid0(VALU_DEP_1) | instskip(NEXT) | instid1(VALU_DEP_1)
	v_add_nc_u32_e32 v2, v1, v30
	v_add_nc_u32_e32 v3, v2, v31
	s_delay_alu instid0(VALU_DEP_1) | instskip(NEXT) | instid1(VALU_DEP_1)
	v_add_nc_u32_e32 v4, v3, v32
	;; [unrolled: 3-line block ×7, first 2 shown]
	v_add_nc_u32_e32 v15, v14, v17
	s_delay_alu instid0(VALU_DEP_1)
	v_add_nc_u32_e32 v16, v15, v18
	s_and_saveexec_b32 s2, vcc_lo
	s_cbranch_execz .LBB13_55
; %bb.54:
	v_dual_mov_b32 v19, 0 :: v_dual_mov_b32 v18, 2
	ds_load_b32 v17, v19 offset:256
	s_waitcnt lgkmcnt(0)
	global_store_b64 v19, v[17:18], s[4:5] offset:256
.LBB13_55:
	s_or_b32 exec_lo, exec_lo, s2
.LBB13_56:
	s_lshl_b64 s[2:3], s[12:13], 3
	v_lshlrev_b32_e32 v18, 6, v0
	v_lshlrev_b32_e32 v17, 3, v0
	s_add_u32 s2, s6, s2
	s_addc_u32 s3, s7, s3
	s_and_b32 vcc_lo, exec_lo, s34
	s_mov_b32 s4, -1
	s_waitcnt lgkmcnt(0)
	s_waitcnt_vscnt null, 0x0
	s_barrier
	buffer_gl0_inv
	s_cbranch_vccz .LBB13_58
; %bb.57:
	v_lshl_add_u32 v19, v35, 2, v18
	v_lshrrev_b32_e32 v20, 5, v48
	v_lshrrev_b32_e32 v23, 5, v46
	;; [unrolled: 1-line block ×3, first 2 shown]
	v_add_lshl_u32 v21, v34, v0, 2
	ds_store_2addr_b32 v19, v1, v2 offset1:1
	ds_store_2addr_b32 v19, v3, v4 offset0:2 offset1:3
	ds_store_2addr_b32 v19, v5, v6 offset0:4 offset1:5
	;; [unrolled: 1-line block ×7, first 2 shown]
	v_lshrrev_b32_e32 v19, 5, v49
	v_lshrrev_b32_e32 v24, 5, v45
	;; [unrolled: 1-line block ×3, first 2 shown]
	v_add_lshl_u32 v20, v20, v0, 2
	v_lshrrev_b32_e32 v32, 5, v42
	v_add_lshl_u32 v22, v19, v0, 2
	v_lshrrev_b32_e32 v19, 5, v47
	v_lshrrev_b32_e32 v51, 5, v41
	v_add_lshl_u32 v28, v23, v0, 2
	v_add_lshl_u32 v26, v26, v0, 2
	v_lshrrev_b32_e32 v52, 5, v40
	v_add_lshl_u32 v27, v19, v0, 2
	s_waitcnt lgkmcnt(0)
	s_barrier
	buffer_gl0_inv
	v_add_lshl_u32 v24, v24, v0, 2
	v_add_lshl_u32 v30, v25, v0, 2
	ds_load_b32 v19, v21
	ds_load_b32 v21, v22 offset:256
	ds_load_b32 v23, v20 offset:512
	;; [unrolled: 1-line block ×7, first 2 shown]
	v_lshrrev_b32_e32 v26, 5, v39
	v_lshrrev_b32_e32 v28, 5, v38
	v_add_lshl_u32 v20, v32, v0, 2
	v_add_lshl_u32 v22, v51, v0, 2
	v_lshrrev_b32_e32 v30, 5, v37
	v_lshrrev_b32_e32 v32, 5, v36
	;; [unrolled: 1-line block ×3, first 2 shown]
	v_add_lshl_u32 v24, v52, v0, 2
	v_add_lshl_u32 v26, v26, v0, 2
	;; [unrolled: 1-line block ×6, first 2 shown]
	ds_load_b32 v52, v20 offset:2048
	ds_load_b32 v54, v22 offset:2304
	;; [unrolled: 1-line block ×8, first 2 shown]
	s_waitcnt lgkmcnt(15)
	v_ashrrev_i32_e32 v20, 31, v19
	v_add_co_u32 v68, s5, s2, v17
	s_waitcnt lgkmcnt(14)
	v_ashrrev_i32_e32 v22, 31, v21
	s_waitcnt lgkmcnt(13)
	v_ashrrev_i32_e32 v24, 31, v23
	v_add_co_ci_u32_e64 v69, null, s3, 0, s5
	s_waitcnt lgkmcnt(12)
	v_ashrrev_i32_e32 v26, 31, v25
	s_waitcnt lgkmcnt(11)
	v_ashrrev_i32_e32 v28, 31, v27
	;; [unrolled: 2-line block ×4, first 2 shown]
	s_clause 0x3
	global_store_b64 v17, v[19:20], s[2:3]
	global_store_b64 v17, v[21:22], s[2:3] offset:512
	global_store_b64 v17, v[23:24], s[2:3] offset:1024
	;; [unrolled: 1-line block ×3, first 2 shown]
	v_add_co_u32 v19, vcc_lo, 0x1000, v68
	s_waitcnt lgkmcnt(8)
	v_ashrrev_i32_e32 v51, 31, v50
	s_waitcnt lgkmcnt(7)
	v_ashrrev_i32_e32 v53, 31, v52
	v_add_co_ci_u32_e32 v20, vcc_lo, 0, v69, vcc_lo
	s_waitcnt lgkmcnt(6)
	v_ashrrev_i32_e32 v55, 31, v54
	s_waitcnt lgkmcnt(5)
	v_ashrrev_i32_e32 v57, 31, v56
	s_waitcnt lgkmcnt(4)
	v_ashrrev_i32_e32 v59, 31, v58
	s_waitcnt lgkmcnt(3)
	v_ashrrev_i32_e32 v61, 31, v60
	s_waitcnt lgkmcnt(2)
	v_ashrrev_i32_e32 v63, 31, v62
	s_waitcnt lgkmcnt(1)
	v_ashrrev_i32_e32 v65, 31, v64
	s_waitcnt lgkmcnt(0)
	v_ashrrev_i32_e32 v67, 31, v66
	s_mov_b32 s4, 0
	s_clause 0xb
	global_store_b64 v17, v[27:28], s[2:3] offset:2048
	global_store_b64 v17, v[29:30], s[2:3] offset:2560
	;; [unrolled: 1-line block ×4, first 2 shown]
	global_store_b64 v[19:20], v[52:53], off
	global_store_b64 v[19:20], v[54:55], off offset:512
	global_store_b64 v[19:20], v[56:57], off offset:1024
	;; [unrolled: 1-line block ×7, first 2 shown]
.LBB13_58:
	s_and_not1_b32 vcc_lo, exec_lo, s4
	s_cbranch_vccnz .LBB13_131
; %bb.59:
	v_lshl_add_u32 v18, v35, 2, v18
	v_lshrrev_b32_e32 v19, 5, v40
	ds_store_2addr_b32 v18, v1, v2 offset1:1
	ds_store_2addr_b32 v18, v3, v4 offset0:2 offset1:3
	ds_store_2addr_b32 v18, v5, v6 offset0:4 offset1:5
	;; [unrolled: 1-line block ×7, first 2 shown]
	v_lshrrev_b32_e32 v2, 5, v48
	v_lshrrev_b32_e32 v1, 5, v49
	;; [unrolled: 1-line block ×4, first 2 shown]
	v_add_lshl_u32 v3, v34, v0, 2
	v_add_lshl_u32 v5, v2, v0, 2
	v_lshrrev_b32_e32 v2, 5, v47
	v_lshrrev_b32_e32 v6, 5, v45
	;; [unrolled: 1-line block ×3, first 2 shown]
	v_add_lshl_u32 v1, v1, v0, 2
	v_lshrrev_b32_e32 v15, 5, v42
	v_add_lshl_u32 v9, v2, v0, 2
	v_lshrrev_b32_e32 v18, 5, v41
	v_add_lshl_u32 v10, v4, v0, 2
	v_add_lshl_u32 v7, v7, v0, 2
	s_waitcnt lgkmcnt(0)
	s_waitcnt_vscnt null, 0x0
	s_barrier
	buffer_gl0_inv
	v_add_lshl_u32 v11, v6, v0, 2
	v_add_lshl_u32 v13, v8, v0, 2
	ds_load_b32 v4, v3
	ds_load_b32 v2, v1 offset:256
	ds_load_b32 v6, v5 offset:512
	;; [unrolled: 1-line block ×7, first 2 shown]
	v_lshrrev_b32_e32 v7, 5, v39
	v_lshrrev_b32_e32 v9, 5, v38
	v_add_lshl_u32 v1, v15, v0, 2
	v_lshrrev_b32_e32 v11, 5, v37
	v_lshrrev_b32_e32 v13, 5, v36
	v_lshrrev_b32_e32 v15, 5, v33
	v_add_lshl_u32 v3, v18, v0, 2
	v_add_lshl_u32 v5, v19, v0, 2
	;; [unrolled: 1-line block ×7, first 2 shown]
	ds_load_b32 v18, v1 offset:2048
	ds_load_b32 v20, v3 offset:2304
	;; [unrolled: 1-line block ×8, first 2 shown]
	v_add_co_u32 v34, s2, s2, v17
	v_mov_b32_e32 v1, 0
	v_add_co_ci_u32_e64 v35, null, s3, 0, s2
	s_mov_b32 s2, exec_lo
	v_cmpx_gt_u32_e64 s14, v0
	s_cbranch_execnz .LBB13_147
; %bb.60:
	s_or_b32 exec_lo, exec_lo, s2
	s_delay_alu instid0(SALU_CYCLE_1)
	s_mov_b32 s2, exec_lo
	v_cmpx_gt_u32_e64 s14, v49
	s_cbranch_execnz .LBB13_148
.LBB13_61:
	s_or_b32 exec_lo, exec_lo, s2
	s_delay_alu instid0(SALU_CYCLE_1)
	s_mov_b32 s2, exec_lo
	v_cmpx_gt_u32_e64 s14, v48
	s_cbranch_execnz .LBB13_149
.LBB13_62:
	s_or_b32 exec_lo, exec_lo, s2
	s_delay_alu instid0(SALU_CYCLE_1)
	s_mov_b32 s2, exec_lo
	v_cmpx_gt_u32_e64 s14, v47
	s_cbranch_execnz .LBB13_150
.LBB13_63:
	s_or_b32 exec_lo, exec_lo, s2
	s_delay_alu instid0(SALU_CYCLE_1)
	s_mov_b32 s2, exec_lo
	v_cmpx_gt_u32_e64 s14, v46
	s_cbranch_execnz .LBB13_151
.LBB13_64:
	s_or_b32 exec_lo, exec_lo, s2
	s_delay_alu instid0(SALU_CYCLE_1)
	s_mov_b32 s2, exec_lo
	v_cmpx_gt_u32_e64 s14, v45
	s_cbranch_execnz .LBB13_152
.LBB13_65:
	s_or_b32 exec_lo, exec_lo, s2
	s_delay_alu instid0(SALU_CYCLE_1)
	s_mov_b32 s2, exec_lo
	v_cmpx_gt_u32_e64 s14, v44
	s_cbranch_execnz .LBB13_153
.LBB13_66:
	s_or_b32 exec_lo, exec_lo, s2
	s_delay_alu instid0(SALU_CYCLE_1)
	s_mov_b32 s2, exec_lo
	v_cmpx_gt_u32_e64 s14, v43
	s_cbranch_execnz .LBB13_154
.LBB13_67:
	s_or_b32 exec_lo, exec_lo, s2
	s_delay_alu instid0(SALU_CYCLE_1)
	s_mov_b32 s2, exec_lo
	v_cmpx_gt_u32_e64 s14, v42
	s_cbranch_execnz .LBB13_155
.LBB13_68:
	s_or_b32 exec_lo, exec_lo, s2
	s_delay_alu instid0(SALU_CYCLE_1)
	s_mov_b32 s2, exec_lo
	v_cmpx_gt_u32_e64 s14, v41
	s_cbranch_execnz .LBB13_156
.LBB13_69:
	s_or_b32 exec_lo, exec_lo, s2
	s_delay_alu instid0(SALU_CYCLE_1)
	s_mov_b32 s2, exec_lo
	v_cmpx_gt_u32_e64 s14, v40
	s_cbranch_execnz .LBB13_157
.LBB13_70:
	s_or_b32 exec_lo, exec_lo, s2
	s_delay_alu instid0(SALU_CYCLE_1)
	s_mov_b32 s2, exec_lo
	v_cmpx_gt_u32_e64 s14, v39
	s_cbranch_execnz .LBB13_158
.LBB13_71:
	s_or_b32 exec_lo, exec_lo, s2
	s_delay_alu instid0(SALU_CYCLE_1)
	s_mov_b32 s2, exec_lo
	v_cmpx_gt_u32_e64 s14, v38
	s_cbranch_execnz .LBB13_159
.LBB13_72:
	s_or_b32 exec_lo, exec_lo, s2
	s_delay_alu instid0(SALU_CYCLE_1)
	s_mov_b32 s2, exec_lo
	v_cmpx_gt_u32_e64 s14, v37
	s_cbranch_execnz .LBB13_160
.LBB13_73:
	s_or_b32 exec_lo, exec_lo, s2
	s_delay_alu instid0(SALU_CYCLE_1)
	s_mov_b32 s2, exec_lo
	v_cmpx_gt_u32_e64 s14, v36
	s_cbranch_execnz .LBB13_161
.LBB13_74:
	s_or_b32 exec_lo, exec_lo, s2
	s_delay_alu instid0(SALU_CYCLE_1)
	s_mov_b32 s2, exec_lo
	v_cmpx_gt_u32_e64 s14, v33
	s_cbranch_execz .LBB13_76
.LBB13_75:
	v_add_co_u32 v34, vcc_lo, 0x1000, v34
	s_waitcnt lgkmcnt(0)
	v_ashrrev_i32_e32 v33, 31, v32
	v_add_co_ci_u32_e32 v35, vcc_lo, 0, v35, vcc_lo
	global_store_b64 v[34:35], v[32:33], off offset:3584
.LBB13_76:
	s_or_b32 exec_lo, exec_lo, s2
	s_load_b32 s0, s[0:1], 0x40
	s_waitcnt lgkmcnt(0)
	s_bfe_u32 s0, s0, 0x10008
	s_delay_alu instid0(SALU_CYCLE_1)
	s_cmp_eq_u32 s0, 0
	s_cbranch_scc1 .LBB13_131
; %bb.77:
	s_add_u32 s0, s14, -1
	s_addc_u32 s1, s33, -1
	s_delay_alu instid0(SALU_CYCLE_1)
	s_lshr_b64 s[2:3], s[0:1], 4
	s_mov_b32 s1, exec_lo
	v_cmpx_eq_u64_e64 s[2:3], v[0:1]
	s_cbranch_execz .LBB13_131
; %bb.78:
	s_and_b32 s0, s0, 15
	s_mov_b32 s1, 0
	s_delay_alu instid0(SALU_CYCLE_1) | instskip(NEXT) | instid1(VALU_DEP_1)
	v_cmp_lt_i64_e64 s2, s[0:1], 8
	s_and_b32 vcc_lo, exec_lo, s2
	s_mov_b32 s2, -1
	s_cbranch_vccnz .LBB13_105
; %bb.79:
	v_cmp_lt_i64_e64 s2, s[0:1], 12
	s_delay_alu instid0(VALU_DEP_1)
	s_and_b32 vcc_lo, exec_lo, s2
	s_mov_b32 s2, -1
	s_cbranch_vccnz .LBB13_92
; %bb.80:
	v_cmp_lt_i64_e64 s2, s[0:1], 14
	s_delay_alu instid0(VALU_DEP_1)
	s_and_b32 vcc_lo, exec_lo, s2
	s_mov_b32 s2, -1
	s_cbranch_vccnz .LBB13_86
; %bb.81:
	v_cmp_gt_i64_e64 s2, s[0:1], 14
	s_delay_alu instid0(VALU_DEP_1)
	s_and_b32 vcc_lo, exec_lo, s2
	s_mov_b32 s2, -1
	s_cbranch_vccz .LBB13_83
; %bb.82:
	v_mov_b32_e32 v0, 0
	s_mov_b32 s2, 0
	global_store_b32 v0, v32, s[10:11]
.LBB13_83:
	s_and_not1_b32 vcc_lo, exec_lo, s2
	s_cbranch_vccnz .LBB13_85
; %bb.84:
	v_mov_b32_e32 v0, 0
	global_store_b32 v0, v30, s[10:11]
.LBB13_85:
	s_mov_b32 s2, 0
.LBB13_86:
	s_delay_alu instid0(SALU_CYCLE_1)
	s_and_not1_b32 vcc_lo, exec_lo, s2
	s_cbranch_vccnz .LBB13_91
; %bb.87:
	v_cmp_gt_i64_e64 s2, s[0:1], 12
	s_delay_alu instid0(VALU_DEP_1)
	s_and_b32 vcc_lo, exec_lo, s2
	s_mov_b32 s2, -1
	s_cbranch_vccz .LBB13_89
; %bb.88:
	v_mov_b32_e32 v0, 0
	s_mov_b32 s2, 0
	global_store_b32 v0, v28, s[10:11]
.LBB13_89:
	s_and_not1_b32 vcc_lo, exec_lo, s2
	s_cbranch_vccnz .LBB13_91
; %bb.90:
	v_mov_b32_e32 v0, 0
	global_store_b32 v0, v26, s[10:11]
.LBB13_91:
	s_mov_b32 s2, 0
.LBB13_92:
	s_delay_alu instid0(SALU_CYCLE_1)
	s_and_not1_b32 vcc_lo, exec_lo, s2
	s_cbranch_vccnz .LBB13_104
; %bb.93:
	v_cmp_lt_i64_e64 s2, s[0:1], 10
	s_delay_alu instid0(VALU_DEP_1)
	s_and_b32 vcc_lo, exec_lo, s2
	s_mov_b32 s2, -1
	s_cbranch_vccnz .LBB13_99
; %bb.94:
	v_cmp_gt_i64_e64 s2, s[0:1], 10
	s_delay_alu instid0(VALU_DEP_1)
	s_and_b32 vcc_lo, exec_lo, s2
	s_mov_b32 s2, -1
	s_cbranch_vccz .LBB13_96
; %bb.95:
	v_mov_b32_e32 v0, 0
	s_mov_b32 s2, 0
	global_store_b32 v0, v24, s[10:11]
.LBB13_96:
	s_and_not1_b32 vcc_lo, exec_lo, s2
	s_cbranch_vccnz .LBB13_98
; %bb.97:
	v_mov_b32_e32 v0, 0
	global_store_b32 v0, v22, s[10:11]
.LBB13_98:
	s_mov_b32 s2, 0
.LBB13_99:
	s_delay_alu instid0(SALU_CYCLE_1)
	s_and_not1_b32 vcc_lo, exec_lo, s2
	s_cbranch_vccnz .LBB13_104
; %bb.100:
	v_cmp_gt_i64_e64 s2, s[0:1], 8
	s_delay_alu instid0(VALU_DEP_1)
	s_and_b32 vcc_lo, exec_lo, s2
	s_mov_b32 s2, -1
	s_cbranch_vccz .LBB13_102
; %bb.101:
	v_mov_b32_e32 v0, 0
	s_mov_b32 s2, 0
	global_store_b32 v0, v20, s[10:11]
.LBB13_102:
	s_and_not1_b32 vcc_lo, exec_lo, s2
	s_cbranch_vccnz .LBB13_104
; %bb.103:
	v_mov_b32_e32 v0, 0
	global_store_b32 v0, v18, s[10:11]
.LBB13_104:
	s_mov_b32 s2, 0
.LBB13_105:
	s_delay_alu instid0(SALU_CYCLE_1)
	s_and_not1_b32 vcc_lo, exec_lo, s2
	s_cbranch_vccnz .LBB13_131
; %bb.106:
	v_cmp_lt_i64_e64 s2, s[0:1], 4
	s_delay_alu instid0(VALU_DEP_1)
	s_and_b32 vcc_lo, exec_lo, s2
	s_mov_b32 s2, -1
	s_cbranch_vccnz .LBB13_119
; %bb.107:
	v_cmp_lt_i64_e64 s2, s[0:1], 6
	s_delay_alu instid0(VALU_DEP_1)
	s_and_b32 vcc_lo, exec_lo, s2
	s_mov_b32 s2, -1
	s_cbranch_vccnz .LBB13_113
; %bb.108:
	v_cmp_gt_i64_e64 s2, s[0:1], 6
	s_delay_alu instid0(VALU_DEP_1)
	s_and_b32 vcc_lo, exec_lo, s2
	s_mov_b32 s2, -1
	s_cbranch_vccz .LBB13_110
; %bb.109:
	v_mov_b32_e32 v0, 0
	s_mov_b32 s2, 0
	global_store_b32 v0, v16, s[10:11]
.LBB13_110:
	s_and_not1_b32 vcc_lo, exec_lo, s2
	s_cbranch_vccnz .LBB13_112
; %bb.111:
	v_mov_b32_e32 v0, 0
	global_store_b32 v0, v14, s[10:11]
.LBB13_112:
	s_mov_b32 s2, 0
.LBB13_113:
	s_delay_alu instid0(SALU_CYCLE_1)
	s_and_not1_b32 vcc_lo, exec_lo, s2
	s_cbranch_vccnz .LBB13_118
; %bb.114:
	v_cmp_gt_i64_e64 s2, s[0:1], 4
	s_delay_alu instid0(VALU_DEP_1)
	s_and_b32 vcc_lo, exec_lo, s2
	s_mov_b32 s2, -1
	s_cbranch_vccz .LBB13_116
; %bb.115:
	v_mov_b32_e32 v0, 0
	s_mov_b32 s2, 0
	global_store_b32 v0, v12, s[10:11]
.LBB13_116:
	s_and_not1_b32 vcc_lo, exec_lo, s2
	s_cbranch_vccnz .LBB13_118
; %bb.117:
	v_mov_b32_e32 v0, 0
	global_store_b32 v0, v10, s[10:11]
.LBB13_118:
	s_mov_b32 s2, 0
.LBB13_119:
	s_delay_alu instid0(SALU_CYCLE_1)
	s_and_not1_b32 vcc_lo, exec_lo, s2
	s_cbranch_vccnz .LBB13_131
; %bb.120:
	v_cmp_lt_i64_e64 s2, s[0:1], 2
	s_delay_alu instid0(VALU_DEP_1)
	s_and_b32 vcc_lo, exec_lo, s2
	s_mov_b32 s2, -1
	s_cbranch_vccnz .LBB13_126
; %bb.121:
	v_cmp_gt_i64_e64 s2, s[0:1], 2
	s_delay_alu instid0(VALU_DEP_1)
	s_and_b32 vcc_lo, exec_lo, s2
	s_mov_b32 s2, -1
	s_cbranch_vccz .LBB13_123
; %bb.122:
	v_mov_b32_e32 v0, 0
	s_mov_b32 s2, 0
	global_store_b32 v0, v8, s[10:11]
.LBB13_123:
	s_and_not1_b32 vcc_lo, exec_lo, s2
	s_cbranch_vccnz .LBB13_125
; %bb.124:
	v_mov_b32_e32 v0, 0
	global_store_b32 v0, v6, s[10:11]
.LBB13_125:
	s_mov_b32 s2, 0
.LBB13_126:
	s_delay_alu instid0(SALU_CYCLE_1)
	s_and_not1_b32 vcc_lo, exec_lo, s2
	s_cbranch_vccnz .LBB13_131
; %bb.127:
	s_cmp_eq_u64 s[0:1], 1
	s_mov_b32 s0, -1
	s_cbranch_scc1 .LBB13_129
; %bb.128:
	v_mov_b32_e32 v0, 0
	s_mov_b32 s0, 0
	global_store_b32 v0, v4, s[10:11]
.LBB13_129:
	s_and_not1_b32 vcc_lo, exec_lo, s0
	s_cbranch_vccnz .LBB13_131
; %bb.130:
	v_mov_b32_e32 v0, 0
	global_store_b32 v0, v2, s[10:11]
.LBB13_131:
	s_nop 0
	s_sendmsg sendmsg(MSG_DEALLOC_VGPRS)
	s_endpgm
.LBB13_132:
	global_load_b32 v21, v[17:18], off
	v_dual_mov_b32 v1, s16 :: v_dual_mov_b32 v2, s17
	v_dual_mov_b32 v3, s18 :: v_dual_mov_b32 v4, s19
	;; [unrolled: 1-line block ×8, first 2 shown]
                                        ; kill: def $vgpr1 killed $vgpr21 killed $exec
	s_or_b32 exec_lo, exec_lo, s3
	s_delay_alu instid0(SALU_CYCLE_1)
	s_mov_b32 s2, exec_lo
	v_cmpx_gt_u32_e64 s14, v49
	s_cbranch_execz .LBB13_5
.LBB13_133:
	global_load_b32 v2, v[17:18], off offset:256
	s_or_b32 exec_lo, exec_lo, s2
	s_delay_alu instid0(SALU_CYCLE_1)
	s_mov_b32 s2, exec_lo
	v_cmpx_gt_u32_e64 s14, v48
	s_cbranch_execz .LBB13_6
.LBB13_134:
	global_load_b32 v3, v[17:18], off offset:512
	s_or_b32 exec_lo, exec_lo, s2
	s_delay_alu instid0(SALU_CYCLE_1)
	s_mov_b32 s2, exec_lo
	v_cmpx_gt_u32_e64 s14, v47
	s_cbranch_execz .LBB13_7
.LBB13_135:
	global_load_b32 v4, v[17:18], off offset:768
	s_or_b32 exec_lo, exec_lo, s2
	s_delay_alu instid0(SALU_CYCLE_1)
	s_mov_b32 s2, exec_lo
	v_cmpx_gt_u32_e64 s14, v46
	s_cbranch_execz .LBB13_8
.LBB13_136:
	global_load_b32 v5, v[17:18], off offset:1024
	s_or_b32 exec_lo, exec_lo, s2
	s_delay_alu instid0(SALU_CYCLE_1)
	s_mov_b32 s2, exec_lo
	v_cmpx_gt_u32_e64 s14, v45
	s_cbranch_execz .LBB13_9
.LBB13_137:
	global_load_b32 v6, v[17:18], off offset:1280
	s_or_b32 exec_lo, exec_lo, s2
	s_delay_alu instid0(SALU_CYCLE_1)
	s_mov_b32 s2, exec_lo
	v_cmpx_gt_u32_e64 s14, v44
	s_cbranch_execz .LBB13_10
.LBB13_138:
	global_load_b32 v7, v[17:18], off offset:1536
	s_or_b32 exec_lo, exec_lo, s2
	s_delay_alu instid0(SALU_CYCLE_1)
	s_mov_b32 s2, exec_lo
	v_cmpx_gt_u32_e64 s14, v43
	s_cbranch_execz .LBB13_11
.LBB13_139:
	global_load_b32 v8, v[17:18], off offset:1792
	s_or_b32 exec_lo, exec_lo, s2
	s_delay_alu instid0(SALU_CYCLE_1)
	s_mov_b32 s2, exec_lo
	v_cmpx_gt_u32_e64 s14, v42
	s_cbranch_execz .LBB13_12
.LBB13_140:
	global_load_b32 v9, v[17:18], off offset:2048
	s_or_b32 exec_lo, exec_lo, s2
	s_delay_alu instid0(SALU_CYCLE_1)
	s_mov_b32 s2, exec_lo
	v_cmpx_gt_u32_e64 s14, v41
	s_cbranch_execz .LBB13_13
.LBB13_141:
	global_load_b32 v10, v[17:18], off offset:2304
	s_or_b32 exec_lo, exec_lo, s2
	s_delay_alu instid0(SALU_CYCLE_1)
	s_mov_b32 s2, exec_lo
	v_cmpx_gt_u32_e64 s14, v40
	s_cbranch_execz .LBB13_14
.LBB13_142:
	global_load_b32 v11, v[17:18], off offset:2560
	s_or_b32 exec_lo, exec_lo, s2
	s_delay_alu instid0(SALU_CYCLE_1)
	s_mov_b32 s2, exec_lo
	v_cmpx_gt_u32_e64 s14, v39
	s_cbranch_execz .LBB13_15
.LBB13_143:
	global_load_b32 v12, v[17:18], off offset:2816
	s_or_b32 exec_lo, exec_lo, s2
	s_delay_alu instid0(SALU_CYCLE_1)
	s_mov_b32 s2, exec_lo
	v_cmpx_gt_u32_e64 s14, v38
	s_cbranch_execz .LBB13_16
.LBB13_144:
	global_load_b32 v13, v[17:18], off offset:3072
	s_or_b32 exec_lo, exec_lo, s2
	s_delay_alu instid0(SALU_CYCLE_1)
	s_mov_b32 s2, exec_lo
	v_cmpx_gt_u32_e64 s14, v37
	s_cbranch_execz .LBB13_17
.LBB13_145:
	global_load_b32 v14, v[17:18], off offset:3328
	s_or_b32 exec_lo, exec_lo, s2
	s_delay_alu instid0(SALU_CYCLE_1)
	s_mov_b32 s2, exec_lo
	v_cmpx_gt_u32_e64 s14, v36
	s_cbranch_execz .LBB13_18
.LBB13_146:
	global_load_b32 v15, v[17:18], off offset:3584
	s_or_b32 exec_lo, exec_lo, s2
	s_delay_alu instid0(SALU_CYCLE_1)
	s_mov_b32 s2, exec_lo
	v_cmpx_gt_u32_e64 s14, v33
	s_cbranch_execnz .LBB13_19
	s_branch .LBB13_20
.LBB13_147:
	s_waitcnt lgkmcnt(15)
	v_ashrrev_i32_e32 v5, 31, v4
	global_store_b64 v[34:35], v[4:5], off
	s_or_b32 exec_lo, exec_lo, s2
	s_delay_alu instid0(SALU_CYCLE_1)
	s_mov_b32 s2, exec_lo
	v_cmpx_gt_u32_e64 s14, v49
	s_cbranch_execz .LBB13_61
.LBB13_148:
	s_waitcnt lgkmcnt(14)
	v_ashrrev_i32_e32 v3, 31, v2
	global_store_b64 v[34:35], v[2:3], off offset:512
	s_or_b32 exec_lo, exec_lo, s2
	s_delay_alu instid0(SALU_CYCLE_1)
	s_mov_b32 s2, exec_lo
	v_cmpx_gt_u32_e64 s14, v48
	s_cbranch_execz .LBB13_62
.LBB13_149:
	s_waitcnt lgkmcnt(13)
	v_ashrrev_i32_e32 v7, 31, v6
	global_store_b64 v[34:35], v[6:7], off offset:1024
	s_or_b32 exec_lo, exec_lo, s2
	s_delay_alu instid0(SALU_CYCLE_1)
	s_mov_b32 s2, exec_lo
	v_cmpx_gt_u32_e64 s14, v47
	s_cbranch_execz .LBB13_63
.LBB13_150:
	s_waitcnt lgkmcnt(12)
	v_ashrrev_i32_e32 v9, 31, v8
	global_store_b64 v[34:35], v[8:9], off offset:1536
	s_or_b32 exec_lo, exec_lo, s2
	s_delay_alu instid0(SALU_CYCLE_1)
	s_mov_b32 s2, exec_lo
	v_cmpx_gt_u32_e64 s14, v46
	s_cbranch_execz .LBB13_64
.LBB13_151:
	s_waitcnt lgkmcnt(11)
	v_ashrrev_i32_e32 v11, 31, v10
	global_store_b64 v[34:35], v[10:11], off offset:2048
	s_or_b32 exec_lo, exec_lo, s2
	s_delay_alu instid0(SALU_CYCLE_1)
	s_mov_b32 s2, exec_lo
	v_cmpx_gt_u32_e64 s14, v45
	s_cbranch_execz .LBB13_65
.LBB13_152:
	s_waitcnt lgkmcnt(10)
	v_ashrrev_i32_e32 v13, 31, v12
	global_store_b64 v[34:35], v[12:13], off offset:2560
	s_or_b32 exec_lo, exec_lo, s2
	s_delay_alu instid0(SALU_CYCLE_1)
	s_mov_b32 s2, exec_lo
	v_cmpx_gt_u32_e64 s14, v44
	s_cbranch_execz .LBB13_66
.LBB13_153:
	s_waitcnt lgkmcnt(9)
	v_ashrrev_i32_e32 v15, 31, v14
	global_store_b64 v[34:35], v[14:15], off offset:3072
	s_or_b32 exec_lo, exec_lo, s2
	s_delay_alu instid0(SALU_CYCLE_1)
	s_mov_b32 s2, exec_lo
	v_cmpx_gt_u32_e64 s14, v43
	s_cbranch_execz .LBB13_67
.LBB13_154:
	s_waitcnt lgkmcnt(8)
	v_ashrrev_i32_e32 v17, 31, v16
	global_store_b64 v[34:35], v[16:17], off offset:3584
	s_or_b32 exec_lo, exec_lo, s2
	s_delay_alu instid0(SALU_CYCLE_1)
	s_mov_b32 s2, exec_lo
	v_cmpx_gt_u32_e64 s14, v42
	s_cbranch_execz .LBB13_68
.LBB13_155:
	v_add_co_u32 v42, vcc_lo, 0x1000, v34
	s_waitcnt lgkmcnt(7)
	v_ashrrev_i32_e32 v19, 31, v18
	v_add_co_ci_u32_e32 v43, vcc_lo, 0, v35, vcc_lo
	global_store_b64 v[42:43], v[18:19], off
	s_or_b32 exec_lo, exec_lo, s2
	s_delay_alu instid0(SALU_CYCLE_1)
	s_mov_b32 s2, exec_lo
	v_cmpx_gt_u32_e64 s14, v41
	s_cbranch_execz .LBB13_69
.LBB13_156:
	v_add_co_u32 v41, vcc_lo, 0x1000, v34
	s_waitcnt lgkmcnt(6)
	v_ashrrev_i32_e32 v21, 31, v20
	v_add_co_ci_u32_e32 v42, vcc_lo, 0, v35, vcc_lo
	global_store_b64 v[41:42], v[20:21], off offset:512
	s_or_b32 exec_lo, exec_lo, s2
	s_delay_alu instid0(SALU_CYCLE_1)
	s_mov_b32 s2, exec_lo
	v_cmpx_gt_u32_e64 s14, v40
	s_cbranch_execz .LBB13_70
.LBB13_157:
	v_add_co_u32 v40, vcc_lo, 0x1000, v34
	s_waitcnt lgkmcnt(5)
	v_ashrrev_i32_e32 v23, 31, v22
	v_add_co_ci_u32_e32 v41, vcc_lo, 0, v35, vcc_lo
	global_store_b64 v[40:41], v[22:23], off offset:1024
	s_or_b32 exec_lo, exec_lo, s2
	s_delay_alu instid0(SALU_CYCLE_1)
	s_mov_b32 s2, exec_lo
	v_cmpx_gt_u32_e64 s14, v39
	s_cbranch_execz .LBB13_71
.LBB13_158:
	v_add_co_u32 v39, vcc_lo, 0x1000, v34
	s_waitcnt lgkmcnt(4)
	v_ashrrev_i32_e32 v25, 31, v24
	v_add_co_ci_u32_e32 v40, vcc_lo, 0, v35, vcc_lo
	global_store_b64 v[39:40], v[24:25], off offset:1536
	s_or_b32 exec_lo, exec_lo, s2
	s_delay_alu instid0(SALU_CYCLE_1)
	s_mov_b32 s2, exec_lo
	v_cmpx_gt_u32_e64 s14, v38
	s_cbranch_execz .LBB13_72
.LBB13_159:
	v_add_co_u32 v38, vcc_lo, 0x1000, v34
	s_waitcnt lgkmcnt(3)
	v_ashrrev_i32_e32 v27, 31, v26
	v_add_co_ci_u32_e32 v39, vcc_lo, 0, v35, vcc_lo
	global_store_b64 v[38:39], v[26:27], off offset:2048
	s_or_b32 exec_lo, exec_lo, s2
	s_delay_alu instid0(SALU_CYCLE_1)
	s_mov_b32 s2, exec_lo
	v_cmpx_gt_u32_e64 s14, v37
	s_cbranch_execz .LBB13_73
.LBB13_160:
	v_add_co_u32 v37, vcc_lo, 0x1000, v34
	s_waitcnt lgkmcnt(2)
	v_ashrrev_i32_e32 v29, 31, v28
	v_add_co_ci_u32_e32 v38, vcc_lo, 0, v35, vcc_lo
	global_store_b64 v[37:38], v[28:29], off offset:2560
	s_or_b32 exec_lo, exec_lo, s2
	s_delay_alu instid0(SALU_CYCLE_1)
	s_mov_b32 s2, exec_lo
	v_cmpx_gt_u32_e64 s14, v36
	s_cbranch_execz .LBB13_74
.LBB13_161:
	v_add_co_u32 v36, vcc_lo, 0x1000, v34
	s_waitcnt lgkmcnt(1)
	v_ashrrev_i32_e32 v31, 31, v30
	v_add_co_ci_u32_e32 v37, vcc_lo, 0, v35, vcc_lo
	global_store_b64 v[36:37], v[30:31], off offset:3072
	s_or_b32 exec_lo, exec_lo, s2
	s_delay_alu instid0(SALU_CYCLE_1)
	s_mov_b32 s2, exec_lo
	v_cmpx_gt_u32_e64 s14, v33
	s_cbranch_execnz .LBB13_75
	s_branch .LBB13_76
	.section	.rodata,"a",@progbits
	.p2align	6, 0x0
	.amdhsa_kernel _ZN7rocprim17ROCPRIM_304000_NS6detail20lookback_scan_kernelILNS1_25lookback_scan_determinismE0ELb0ENS1_19wrapped_scan_configINS0_14default_configEiEEPKiPlSt4plusIvEiiNS1_19lookback_scan_stateIiLb0ELb1EEEEEvT2_T3_mT5_T4_T7_jPT6_SK_bb
		.amdhsa_group_segment_fixed_size 4224
		.amdhsa_private_segment_fixed_size 0
		.amdhsa_kernarg_size 68
		.amdhsa_user_sgpr_count 15
		.amdhsa_user_sgpr_dispatch_ptr 0
		.amdhsa_user_sgpr_queue_ptr 0
		.amdhsa_user_sgpr_kernarg_segment_ptr 1
		.amdhsa_user_sgpr_dispatch_id 0
		.amdhsa_user_sgpr_private_segment_size 0
		.amdhsa_wavefront_size32 1
		.amdhsa_uses_dynamic_stack 0
		.amdhsa_enable_private_segment 0
		.amdhsa_system_sgpr_workgroup_id_x 1
		.amdhsa_system_sgpr_workgroup_id_y 0
		.amdhsa_system_sgpr_workgroup_id_z 0
		.amdhsa_system_sgpr_workgroup_info 0
		.amdhsa_system_vgpr_workitem_id 0
		.amdhsa_next_free_vgpr 70
		.amdhsa_next_free_sgpr 35
		.amdhsa_reserve_vcc 1
		.amdhsa_float_round_mode_32 0
		.amdhsa_float_round_mode_16_64 0
		.amdhsa_float_denorm_mode_32 3
		.amdhsa_float_denorm_mode_16_64 3
		.amdhsa_dx10_clamp 1
		.amdhsa_ieee_mode 1
		.amdhsa_fp16_overflow 0
		.amdhsa_workgroup_processor_mode 1
		.amdhsa_memory_ordered 1
		.amdhsa_forward_progress 0
		.amdhsa_shared_vgpr_count 0
		.amdhsa_exception_fp_ieee_invalid_op 0
		.amdhsa_exception_fp_denorm_src 0
		.amdhsa_exception_fp_ieee_div_zero 0
		.amdhsa_exception_fp_ieee_overflow 0
		.amdhsa_exception_fp_ieee_underflow 0
		.amdhsa_exception_fp_ieee_inexact 0
		.amdhsa_exception_int_div_zero 0
	.end_amdhsa_kernel
	.section	.text._ZN7rocprim17ROCPRIM_304000_NS6detail20lookback_scan_kernelILNS1_25lookback_scan_determinismE0ELb0ENS1_19wrapped_scan_configINS0_14default_configEiEEPKiPlSt4plusIvEiiNS1_19lookback_scan_stateIiLb0ELb1EEEEEvT2_T3_mT5_T4_T7_jPT6_SK_bb,"axG",@progbits,_ZN7rocprim17ROCPRIM_304000_NS6detail20lookback_scan_kernelILNS1_25lookback_scan_determinismE0ELb0ENS1_19wrapped_scan_configINS0_14default_configEiEEPKiPlSt4plusIvEiiNS1_19lookback_scan_stateIiLb0ELb1EEEEEvT2_T3_mT5_T4_T7_jPT6_SK_bb,comdat
.Lfunc_end13:
	.size	_ZN7rocprim17ROCPRIM_304000_NS6detail20lookback_scan_kernelILNS1_25lookback_scan_determinismE0ELb0ENS1_19wrapped_scan_configINS0_14default_configEiEEPKiPlSt4plusIvEiiNS1_19lookback_scan_stateIiLb0ELb1EEEEEvT2_T3_mT5_T4_T7_jPT6_SK_bb, .Lfunc_end13-_ZN7rocprim17ROCPRIM_304000_NS6detail20lookback_scan_kernelILNS1_25lookback_scan_determinismE0ELb0ENS1_19wrapped_scan_configINS0_14default_configEiEEPKiPlSt4plusIvEiiNS1_19lookback_scan_stateIiLb0ELb1EEEEEvT2_T3_mT5_T4_T7_jPT6_SK_bb
                                        ; -- End function
	.section	.AMDGPU.csdata,"",@progbits
; Kernel info:
; codeLenInByte = 7796
; NumSgprs: 37
; NumVgprs: 70
; ScratchSize: 0
; MemoryBound: 0
; FloatMode: 240
; IeeeMode: 1
; LDSByteSize: 4224 bytes/workgroup (compile time only)
; SGPRBlocks: 4
; VGPRBlocks: 8
; NumSGPRsForWavesPerEU: 37
; NumVGPRsForWavesPerEU: 70
; Occupancy: 16
; WaveLimiterHint : 1
; COMPUTE_PGM_RSRC2:SCRATCH_EN: 0
; COMPUTE_PGM_RSRC2:USER_SGPR: 15
; COMPUTE_PGM_RSRC2:TRAP_HANDLER: 0
; COMPUTE_PGM_RSRC2:TGID_X_EN: 1
; COMPUTE_PGM_RSRC2:TGID_Y_EN: 0
; COMPUTE_PGM_RSRC2:TGID_Z_EN: 0
; COMPUTE_PGM_RSRC2:TIDIG_COMP_CNT: 0
	.section	.text._ZN7rocprim17ROCPRIM_304000_NS6detail18single_scan_kernelILb0ENS1_19wrapped_scan_configINS0_14default_configEiEEPKiPlSt4plusIvEiiEEvT1_mT4_T2_T3_,"axG",@progbits,_ZN7rocprim17ROCPRIM_304000_NS6detail18single_scan_kernelILb0ENS1_19wrapped_scan_configINS0_14default_configEiEEPKiPlSt4plusIvEiiEEvT1_mT4_T2_T3_,comdat
	.protected	_ZN7rocprim17ROCPRIM_304000_NS6detail18single_scan_kernelILb0ENS1_19wrapped_scan_configINS0_14default_configEiEEPKiPlSt4plusIvEiiEEvT1_mT4_T2_T3_ ; -- Begin function _ZN7rocprim17ROCPRIM_304000_NS6detail18single_scan_kernelILb0ENS1_19wrapped_scan_configINS0_14default_configEiEEPKiPlSt4plusIvEiiEEvT1_mT4_T2_T3_
	.globl	_ZN7rocprim17ROCPRIM_304000_NS6detail18single_scan_kernelILb0ENS1_19wrapped_scan_configINS0_14default_configEiEEPKiPlSt4plusIvEiiEEvT1_mT4_T2_T3_
	.p2align	8
	.type	_ZN7rocprim17ROCPRIM_304000_NS6detail18single_scan_kernelILb0ENS1_19wrapped_scan_configINS0_14default_configEiEEPKiPlSt4plusIvEiiEEvT1_mT4_T2_T3_,@function
_ZN7rocprim17ROCPRIM_304000_NS6detail18single_scan_kernelILb0ENS1_19wrapped_scan_configINS0_14default_configEiEEPKiPlSt4plusIvEiiEEvT1_mT4_T2_T3_: ; @_ZN7rocprim17ROCPRIM_304000_NS6detail18single_scan_kernelILb0ENS1_19wrapped_scan_configINS0_14default_configEiEEPKiPlSt4plusIvEiiEEvT1_mT4_T2_T3_
; %bb.0:
	s_load_b128 s[20:23], s[0:1], 0x0
	s_waitcnt lgkmcnt(0)
	s_load_b32 s4, s[20:21], 0x0
	v_cmp_gt_u32_e32 vcc_lo, s22, v0
	s_waitcnt lgkmcnt(0)
	s_mov_b32 s5, s4
	s_mov_b32 s6, s4
	s_mov_b32 s7, s4
	s_mov_b32 s8, s4
	s_mov_b32 s9, s4
	s_mov_b32 s10, s4
	s_mov_b32 s11, s4
	s_mov_b32 s12, s4
	s_mov_b32 s13, s4
	s_mov_b32 s14, s4
	s_mov_b32 s15, s4
	s_mov_b32 s16, s4
	s_mov_b32 s17, s4
	s_mov_b32 s18, s4
	s_mov_b32 s19, s4
	v_lshlrev_b32_e32 v19, 2, v0
	v_dual_mov_b32 v1, s4 :: v_dual_mov_b32 v4, s7
	v_dual_mov_b32 v2, s5 :: v_dual_mov_b32 v3, s6
	v_mov_b32_e32 v6, s9
	s_delay_alu instid0(VALU_DEP_4) | instskip(NEXT) | instid1(VALU_DEP_1)
	v_add_co_u32 v17, s2, s20, v19
	v_add_co_ci_u32_e64 v18, null, s21, 0, s2
	v_dual_mov_b32 v5, s8 :: v_dual_mov_b32 v8, s11
	v_dual_mov_b32 v7, s10 :: v_dual_mov_b32 v10, s13
	;; [unrolled: 1-line block ×6, first 2 shown]
	s_and_saveexec_b32 s2, vcc_lo
	s_cbranch_execz .LBB14_2
; %bb.1:
	global_load_b32 v20, v[17:18], off
	v_dual_mov_b32 v1, s4 :: v_dual_mov_b32 v2, s5
	v_dual_mov_b32 v3, s6 :: v_dual_mov_b32 v4, s7
	;; [unrolled: 1-line block ×8, first 2 shown]
                                        ; kill: def $vgpr1 killed $vgpr20 killed $exec
.LBB14_2:
	s_or_b32 exec_lo, exec_lo, s2
	v_or_b32_e32 v1, 64, v0
	s_delay_alu instid0(VALU_DEP_1) | instskip(NEXT) | instid1(VALU_DEP_1)
	v_cmp_gt_u32_e64 s2, s22, v1
	s_and_saveexec_b32 s3, s2
	s_cbranch_execz .LBB14_4
; %bb.3:
	global_load_b32 v2, v[17:18], off offset:256
.LBB14_4:
	s_or_b32 exec_lo, exec_lo, s3
	v_or_b32_e32 v21, 0x80, v0
	s_delay_alu instid0(VALU_DEP_1) | instskip(NEXT) | instid1(VALU_DEP_1)
	v_cmp_gt_u32_e64 s3, s22, v21
	s_and_saveexec_b32 s4, s3
	s_cbranch_execz .LBB14_6
; %bb.5:
	global_load_b32 v3, v[17:18], off offset:512
.LBB14_6:
	;; [unrolled: 9-line block ×15, first 2 shown]
	s_or_b32 exec_lo, exec_lo, s17
	v_lshrrev_b32_e32 v17, 3, v0
	v_lshrrev_b32_e32 v1, 3, v1
	;; [unrolled: 1-line block ×5, first 2 shown]
	v_and_b32_e32 v17, 4, v17
	v_and_b32_e32 v1, 12, v1
	v_lshrrev_b32_e32 v23, 3, v23
	v_and_b32_e32 v18, 28, v18
	s_mov_b32 s18, exec_lo
	v_add_nc_u32_e32 v21, v17, v19
	v_add_nc_u32_e32 v17, v1, v19
	v_and_b32_e32 v1, 28, v22
	v_add_nc_u32_e32 v22, v18, v19
	v_and_b32_e32 v23, 60, v23
	s_waitcnt vmcnt(0)
	ds_store_b32 v21, v20
	ds_store_b32 v17, v2 offset:256
	v_and_b32_e32 v2, 60, v24
	v_add_nc_u32_e32 v20, v1, v19
	v_lshrrev_b32_e32 v1, 3, v25
	ds_store_b32 v22, v3 offset:512
	v_lshrrev_b32_e32 v3, 3, v27
	v_add_nc_u32_e32 v24, v2, v19
	v_lshrrev_b32_e32 v2, 3, v26
	v_and_b32_e32 v1, 60, v1
	v_add_nc_u32_e32 v23, v23, v19
	ds_store_b32 v20, v4 offset:768
	ds_store_b32 v23, v5 offset:1024
	v_add_nc_u32_e32 v25, v1, v19
	v_and_b32_e32 v1, 60, v2
	v_lshrrev_b32_e32 v2, 3, v29
	v_lshrrev_b32_e32 v4, 3, v28
	v_and_b32_e32 v3, 0x7c, v3
	ds_store_b32 v24, v6 offset:1280
	v_add_nc_u32_e32 v26, v1, v19
	v_and_b32_e32 v1, 0x7c, v2
	v_lshrrev_b32_e32 v2, 3, v30
	v_and_b32_e32 v4, 0x7c, v4
	v_add_nc_u32_e32 v27, v3, v19
	v_lshrrev_b32_e32 v3, 3, v32
	v_add_nc_u32_e32 v29, v1, v19
	v_and_b32_e32 v1, 0x7c, v2
	v_lshrrev_b32_e32 v2, 3, v31
	v_add_nc_u32_e32 v28, v4, v19
	v_lshrrev_b32_e32 v4, 3, v33
	v_and_b32_e32 v3, 0x7c, v3
	v_add_nc_u32_e32 v30, v1, v19
	v_and_b32_e32 v1, 0x7c, v2
	v_lshrrev_b32_e32 v2, 3, v34
	v_and_b32_e32 v4, 0x7c, v4
	v_add_nc_u32_e32 v32, v3, v19
	v_lshrrev_b32_e32 v3, 1, v0
	v_add_nc_u32_e32 v31, v1, v19
	v_and_b32_e32 v1, 0x7c, v2
	v_lshlrev_b32_e32 v2, 4, v0
	v_add_nc_u32_e32 v33, v4, v19
	ds_store_b32 v25, v7 offset:1536
	ds_store_b32 v26, v8 offset:1792
	v_add_nc_u32_e32 v19, v1, v19
	v_add_lshl_u32 v18, v3, v2, 2
	ds_store_b32 v27, v9 offset:2048
	ds_store_b32 v28, v10 offset:2304
	;; [unrolled: 1-line block ×8, first 2 shown]
	s_waitcnt lgkmcnt(0)
	s_barrier
	buffer_gl0_inv
	ds_load_2addr_b32 v[9:10], v18 offset1:1
	ds_load_2addr_b32 v[7:8], v18 offset0:2 offset1:3
	ds_load_2addr_b32 v[3:4], v18 offset0:4 offset1:5
	;; [unrolled: 1-line block ×5, first 2 shown]
	s_waitcnt lgkmcnt(5)
	v_add_nc_u32_e32 v5, v10, v9
	s_waitcnt lgkmcnt(4)
	s_delay_alu instid0(VALU_DEP_1) | instskip(SKIP_1) | instid1(VALU_DEP_1)
	v_add3_u32 v5, v5, v7, v8
	s_waitcnt lgkmcnt(3)
	v_add3_u32 v34, v5, v3, v4
	ds_load_2addr_b32 v[15:16], v18 offset0:12 offset1:13
	ds_load_2addr_b32 v[5:6], v18 offset0:14 offset1:15
	s_waitcnt lgkmcnt(0)
	s_barrier
	buffer_gl0_inv
	v_add3_u32 v34, v34, v1, v2
	s_delay_alu instid0(VALU_DEP_1) | instskip(NEXT) | instid1(VALU_DEP_1)
	v_add3_u32 v34, v34, v11, v12
	v_add3_u32 v34, v34, v13, v14
	s_delay_alu instid0(VALU_DEP_1) | instskip(NEXT) | instid1(VALU_DEP_1)
	v_add3_u32 v34, v34, v15, v16
	v_add3_u32 v34, v34, v5, v6
	ds_store_b32 v21, v34
	s_waitcnt lgkmcnt(0)
	s_barrier
	buffer_gl0_inv
	v_cmpx_gt_u32_e32 32, v0
	s_cbranch_execz .LBB14_34
; %bb.33:
	v_lshrrev_b32_e32 v35, 2, v0
	v_mbcnt_lo_u32_b32 v38, -1, 0
	s_delay_alu instid0(VALU_DEP_2) | instskip(NEXT) | instid1(VALU_DEP_2)
	v_and_b32_e32 v35, 12, v35
	v_and_b32_e32 v40, 15, v38
	v_add_nc_u32_e32 v42, -1, v38
	s_delay_alu instid0(VALU_DEP_3) | instskip(NEXT) | instid1(VALU_DEP_3)
	v_lshl_or_b32 v37, v0, 3, v35
	v_cmp_ne_u32_e64 s17, 0, v40
	ds_load_2addr_b32 v[35:36], v37 offset1:1
	s_waitcnt lgkmcnt(0)
	v_add_nc_u32_e32 v39, v36, v35
	s_delay_alu instid0(VALU_DEP_1) | instskip(NEXT) | instid1(VALU_DEP_1)
	v_mov_b32_dpp v41, v39 row_shr:1 row_mask:0xf bank_mask:0xf
	v_cndmask_b32_e64 v41, 0, v41, s17
	v_cmp_lt_u32_e64 s17, 1, v40
	s_delay_alu instid0(VALU_DEP_2) | instskip(NEXT) | instid1(VALU_DEP_1)
	v_add_nc_u32_e32 v39, v41, v39
	v_mov_b32_dpp v41, v39 row_shr:2 row_mask:0xf bank_mask:0xf
	s_delay_alu instid0(VALU_DEP_1) | instskip(SKIP_1) | instid1(VALU_DEP_2)
	v_cndmask_b32_e64 v41, 0, v41, s17
	v_cmp_lt_u32_e64 s17, 3, v40
	v_add_nc_u32_e32 v39, v39, v41
	s_delay_alu instid0(VALU_DEP_1) | instskip(NEXT) | instid1(VALU_DEP_1)
	v_mov_b32_dpp v41, v39 row_shr:4 row_mask:0xf bank_mask:0xf
	v_cndmask_b32_e64 v41, 0, v41, s17
	v_cmp_lt_u32_e64 s17, 7, v40
	s_delay_alu instid0(VALU_DEP_2) | instskip(NEXT) | instid1(VALU_DEP_1)
	v_add_nc_u32_e32 v39, v39, v41
	v_mov_b32_dpp v41, v39 row_shr:8 row_mask:0xf bank_mask:0xf
	s_delay_alu instid0(VALU_DEP_1) | instskip(SKIP_2) | instid1(VALU_DEP_3)
	v_cndmask_b32_e64 v40, 0, v41, s17
	v_bfe_i32 v41, v38, 4, 1
	v_cmp_gt_i32_e64 s17, 0, v42
	v_add_nc_u32_e32 v39, v39, v40
	s_delay_alu instid0(VALU_DEP_2)
	v_cndmask_b32_e64 v38, v42, v38, s17
	v_cmp_eq_u32_e64 s17, 0, v0
	ds_swizzle_b32 v40, v39 offset:swizzle(BROADCAST,32,15)
	v_lshlrev_b32_e32 v38, 2, v38
	s_waitcnt lgkmcnt(0)
	v_and_b32_e32 v40, v41, v40
	s_delay_alu instid0(VALU_DEP_1) | instskip(SKIP_3) | instid1(VALU_DEP_1)
	v_add_nc_u32_e32 v39, v39, v40
	ds_bpermute_b32 v38, v38, v39
	s_waitcnt lgkmcnt(0)
	v_add_nc_u32_e32 v35, v38, v35
	v_cndmask_b32_e64 v34, v35, v34, s17
	s_delay_alu instid0(VALU_DEP_1)
	v_add_nc_u32_e32 v35, v34, v36
	ds_store_2addr_b32 v37, v34, v35 offset1:1
.LBB14_34:
	s_or_b32 exec_lo, exec_lo, s18
	v_mov_b32_e32 v34, 0
	s_mov_b32 s18, exec_lo
	s_waitcnt lgkmcnt(0)
	s_barrier
	buffer_gl0_inv
	v_cmpx_ne_u32_e32 0, v0
	s_cbranch_execz .LBB14_36
; %bb.35:
	v_add_nc_u32_e32 v34, -1, v0
	s_delay_alu instid0(VALU_DEP_1) | instskip(NEXT) | instid1(VALU_DEP_1)
	v_lshrrev_b32_e32 v35, 5, v34
	v_add_lshl_u32 v34, v35, v34, 2
	ds_load_b32 v34, v34
.LBB14_36:
	s_or_b32 exec_lo, exec_lo, s18
	s_waitcnt lgkmcnt(0)
	v_add_nc_u32_e32 v9, v34, v9
	s_barrier
	buffer_gl0_inv
	s_load_b64 s[0:1], s[0:1], 0x18
	v_add_nc_u32_e32 v10, v9, v10
	v_lshlrev_b32_e32 v0, 3, v0
	s_delay_alu instid0(VALU_DEP_2) | instskip(NEXT) | instid1(VALU_DEP_1)
	v_add_nc_u32_e32 v7, v10, v7
	v_add_nc_u32_e32 v8, v7, v8
	s_delay_alu instid0(VALU_DEP_1) | instskip(NEXT) | instid1(VALU_DEP_1)
	v_add_nc_u32_e32 v3, v8, v3
	v_add_nc_u32_e32 v4, v3, v4
	s_delay_alu instid0(VALU_DEP_1) | instskip(NEXT) | instid1(VALU_DEP_1)
	;; [unrolled: 3-line block ×6, first 2 shown]
	v_add_nc_u32_e32 v5, v16, v5
	v_add_nc_u32_e32 v6, v5, v6
	ds_store_2addr_b32 v18, v9, v10 offset1:1
	ds_store_2addr_b32 v18, v7, v8 offset0:2 offset1:3
	ds_store_2addr_b32 v18, v3, v4 offset0:4 offset1:5
	;; [unrolled: 1-line block ×7, first 2 shown]
	s_waitcnt lgkmcnt(0)
	s_barrier
	buffer_gl0_inv
	ds_load_b32 v18, v17 offset:256
	ds_load_b32 v17, v22 offset:512
	;; [unrolled: 1-line block ×15, first 2 shown]
	v_add_co_u32 v3, s0, s0, v0
	s_delay_alu instid0(VALU_DEP_1)
	v_add_co_ci_u32_e64 v4, null, s1, 0, s0
	s_and_saveexec_b32 s0, vcc_lo
	s_cbranch_execnz .LBB14_53
; %bb.37:
	s_or_b32 exec_lo, exec_lo, s0
	s_and_saveexec_b32 s0, s2
	s_cbranch_execnz .LBB14_54
.LBB14_38:
	s_or_b32 exec_lo, exec_lo, s0
	s_and_saveexec_b32 s0, s3
	s_cbranch_execnz .LBB14_55
.LBB14_39:
	s_or_b32 exec_lo, exec_lo, s0
	s_and_saveexec_b32 s0, s4
	s_cbranch_execnz .LBB14_56
.LBB14_40:
	s_or_b32 exec_lo, exec_lo, s0
	s_and_saveexec_b32 s0, s5
	s_cbranch_execnz .LBB14_57
.LBB14_41:
	s_or_b32 exec_lo, exec_lo, s0
	s_and_saveexec_b32 s0, s6
	s_cbranch_execnz .LBB14_58
.LBB14_42:
	s_or_b32 exec_lo, exec_lo, s0
	s_and_saveexec_b32 s0, s7
	s_cbranch_execnz .LBB14_59
.LBB14_43:
	s_or_b32 exec_lo, exec_lo, s0
	s_and_saveexec_b32 s0, s8
	s_cbranch_execnz .LBB14_60
.LBB14_44:
	s_or_b32 exec_lo, exec_lo, s0
	s_and_saveexec_b32 s0, s9
	s_cbranch_execnz .LBB14_61
.LBB14_45:
	s_or_b32 exec_lo, exec_lo, s0
	s_and_saveexec_b32 s0, s10
	s_cbranch_execnz .LBB14_62
.LBB14_46:
	s_or_b32 exec_lo, exec_lo, s0
	s_and_saveexec_b32 s0, s11
	s_cbranch_execnz .LBB14_63
.LBB14_47:
	s_or_b32 exec_lo, exec_lo, s0
	s_and_saveexec_b32 s0, s12
	s_cbranch_execnz .LBB14_64
.LBB14_48:
	s_or_b32 exec_lo, exec_lo, s0
	s_and_saveexec_b32 s0, s13
	s_cbranch_execnz .LBB14_65
.LBB14_49:
	s_or_b32 exec_lo, exec_lo, s0
	s_and_saveexec_b32 s0, s14
	s_cbranch_execnz .LBB14_66
.LBB14_50:
	s_or_b32 exec_lo, exec_lo, s0
	s_and_saveexec_b32 s0, s15
	s_cbranch_execnz .LBB14_67
.LBB14_51:
	s_or_b32 exec_lo, exec_lo, s0
	s_and_saveexec_b32 s0, s16
	s_cbranch_execnz .LBB14_68
.LBB14_52:
	s_nop 0
	s_sendmsg sendmsg(MSG_DEALLOC_VGPRS)
	s_endpgm
.LBB14_53:
	ds_load_b32 v19, v21
	s_waitcnt lgkmcnt(0)
	v_ashrrev_i32_e32 v20, 31, v19
	global_store_b64 v[3:4], v[19:20], off
	s_or_b32 exec_lo, exec_lo, s0
	s_and_saveexec_b32 s0, s2
	s_cbranch_execz .LBB14_38
.LBB14_54:
	s_waitcnt lgkmcnt(14)
	v_ashrrev_i32_e32 v19, 31, v18
	global_store_b64 v[3:4], v[18:19], off offset:512
	s_or_b32 exec_lo, exec_lo, s0
	s_and_saveexec_b32 s0, s3
	s_cbranch_execz .LBB14_39
.LBB14_55:
	s_waitcnt lgkmcnt(13)
	v_ashrrev_i32_e32 v18, 31, v17
	global_store_b64 v[3:4], v[17:18], off offset:1024
	s_or_b32 exec_lo, exec_lo, s0
	s_and_saveexec_b32 s0, s4
	s_cbranch_execz .LBB14_40
.LBB14_56:
	s_waitcnt lgkmcnt(12)
	v_ashrrev_i32_e32 v17, 31, v16
	global_store_b64 v[3:4], v[16:17], off offset:1536
	s_or_b32 exec_lo, exec_lo, s0
	s_and_saveexec_b32 s0, s5
	s_cbranch_execz .LBB14_41
.LBB14_57:
	s_waitcnt lgkmcnt(11)
	v_ashrrev_i32_e32 v16, 31, v15
	global_store_b64 v[3:4], v[15:16], off offset:2048
	s_or_b32 exec_lo, exec_lo, s0
	s_and_saveexec_b32 s0, s6
	s_cbranch_execz .LBB14_42
.LBB14_58:
	s_waitcnt lgkmcnt(10)
	v_ashrrev_i32_e32 v15, 31, v14
	global_store_b64 v[3:4], v[14:15], off offset:2560
	s_or_b32 exec_lo, exec_lo, s0
	s_and_saveexec_b32 s0, s7
	s_cbranch_execz .LBB14_43
.LBB14_59:
	s_waitcnt lgkmcnt(9)
	v_ashrrev_i32_e32 v14, 31, v13
	global_store_b64 v[3:4], v[13:14], off offset:3072
	s_or_b32 exec_lo, exec_lo, s0
	s_and_saveexec_b32 s0, s8
	s_cbranch_execz .LBB14_44
.LBB14_60:
	s_waitcnt lgkmcnt(8)
	v_ashrrev_i32_e32 v13, 31, v12
	global_store_b64 v[3:4], v[12:13], off offset:3584
	s_or_b32 exec_lo, exec_lo, s0
	s_and_saveexec_b32 s0, s9
	s_cbranch_execz .LBB14_45
.LBB14_61:
	s_waitcnt lgkmcnt(9)
	v_add_co_u32 v13, vcc_lo, 0x1000, v3
	s_waitcnt lgkmcnt(7)
	v_ashrrev_i32_e32 v12, 31, v11
	v_add_co_ci_u32_e32 v14, vcc_lo, 0, v4, vcc_lo
	global_store_b64 v[13:14], v[11:12], off
	s_or_b32 exec_lo, exec_lo, s0
	s_and_saveexec_b32 s0, s10
	s_cbranch_execz .LBB14_46
.LBB14_62:
	s_waitcnt lgkmcnt(8)
	v_add_co_u32 v12, vcc_lo, 0x1000, v3
	s_waitcnt lgkmcnt(6)
	v_ashrrev_i32_e32 v11, 31, v10
	v_add_co_ci_u32_e32 v13, vcc_lo, 0, v4, vcc_lo
	global_store_b64 v[12:13], v[10:11], off offset:512
	s_or_b32 exec_lo, exec_lo, s0
	s_and_saveexec_b32 s0, s11
	s_cbranch_execz .LBB14_47
.LBB14_63:
	s_waitcnt lgkmcnt(7)
	v_add_co_u32 v11, vcc_lo, 0x1000, v3
	s_waitcnt lgkmcnt(5)
	v_ashrrev_i32_e32 v10, 31, v9
	v_add_co_ci_u32_e32 v12, vcc_lo, 0, v4, vcc_lo
	global_store_b64 v[11:12], v[9:10], off offset:1024
	s_or_b32 exec_lo, exec_lo, s0
	s_and_saveexec_b32 s0, s12
	s_cbranch_execz .LBB14_48
.LBB14_64:
	s_waitcnt lgkmcnt(6)
	v_add_co_u32 v10, vcc_lo, 0x1000, v3
	s_waitcnt lgkmcnt(4)
	v_ashrrev_i32_e32 v9, 31, v8
	v_add_co_ci_u32_e32 v11, vcc_lo, 0, v4, vcc_lo
	global_store_b64 v[10:11], v[8:9], off offset:1536
	s_or_b32 exec_lo, exec_lo, s0
	s_and_saveexec_b32 s0, s13
	s_cbranch_execz .LBB14_49
.LBB14_65:
	s_waitcnt lgkmcnt(5)
	v_add_co_u32 v9, vcc_lo, 0x1000, v3
	s_waitcnt lgkmcnt(3)
	v_ashrrev_i32_e32 v8, 31, v7
	v_add_co_ci_u32_e32 v10, vcc_lo, 0, v4, vcc_lo
	global_store_b64 v[9:10], v[7:8], off offset:2048
	s_or_b32 exec_lo, exec_lo, s0
	s_and_saveexec_b32 s0, s14
	s_cbranch_execz .LBB14_50
.LBB14_66:
	s_waitcnt lgkmcnt(4)
	v_add_co_u32 v8, vcc_lo, 0x1000, v3
	s_waitcnt lgkmcnt(2)
	v_ashrrev_i32_e32 v7, 31, v6
	v_add_co_ci_u32_e32 v9, vcc_lo, 0, v4, vcc_lo
	global_store_b64 v[8:9], v[6:7], off offset:2560
	s_or_b32 exec_lo, exec_lo, s0
	s_and_saveexec_b32 s0, s15
	s_cbranch_execz .LBB14_51
.LBB14_67:
	s_waitcnt lgkmcnt(3)
	v_add_co_u32 v7, vcc_lo, 0x1000, v3
	s_waitcnt lgkmcnt(1)
	v_ashrrev_i32_e32 v6, 31, v5
	v_add_co_ci_u32_e32 v8, vcc_lo, 0, v4, vcc_lo
	global_store_b64 v[7:8], v[5:6], off offset:3072
	s_or_b32 exec_lo, exec_lo, s0
	s_and_saveexec_b32 s0, s16
	s_cbranch_execz .LBB14_52
.LBB14_68:
	v_add_co_u32 v3, vcc_lo, 0x1000, v3
	s_waitcnt lgkmcnt(0)
	v_ashrrev_i32_e32 v2, 31, v1
	v_add_co_ci_u32_e32 v4, vcc_lo, 0, v4, vcc_lo
	global_store_b64 v[3:4], v[1:2], off offset:3584
	s_nop 0
	s_sendmsg sendmsg(MSG_DEALLOC_VGPRS)
	s_endpgm
	.section	.rodata,"a",@progbits
	.p2align	6, 0x0
	.amdhsa_kernel _ZN7rocprim17ROCPRIM_304000_NS6detail18single_scan_kernelILb0ENS1_19wrapped_scan_configINS0_14default_configEiEEPKiPlSt4plusIvEiiEEvT1_mT4_T2_T3_
		.amdhsa_group_segment_fixed_size 4224
		.amdhsa_private_segment_fixed_size 0
		.amdhsa_kernarg_size 36
		.amdhsa_user_sgpr_count 15
		.amdhsa_user_sgpr_dispatch_ptr 0
		.amdhsa_user_sgpr_queue_ptr 0
		.amdhsa_user_sgpr_kernarg_segment_ptr 1
		.amdhsa_user_sgpr_dispatch_id 0
		.amdhsa_user_sgpr_private_segment_size 0
		.amdhsa_wavefront_size32 1
		.amdhsa_uses_dynamic_stack 0
		.amdhsa_enable_private_segment 0
		.amdhsa_system_sgpr_workgroup_id_x 1
		.amdhsa_system_sgpr_workgroup_id_y 0
		.amdhsa_system_sgpr_workgroup_id_z 0
		.amdhsa_system_sgpr_workgroup_info 0
		.amdhsa_system_vgpr_workitem_id 0
		.amdhsa_next_free_vgpr 43
		.amdhsa_next_free_sgpr 24
		.amdhsa_reserve_vcc 1
		.amdhsa_float_round_mode_32 0
		.amdhsa_float_round_mode_16_64 0
		.amdhsa_float_denorm_mode_32 3
		.amdhsa_float_denorm_mode_16_64 3
		.amdhsa_dx10_clamp 1
		.amdhsa_ieee_mode 1
		.amdhsa_fp16_overflow 0
		.amdhsa_workgroup_processor_mode 1
		.amdhsa_memory_ordered 1
		.amdhsa_forward_progress 0
		.amdhsa_shared_vgpr_count 0
		.amdhsa_exception_fp_ieee_invalid_op 0
		.amdhsa_exception_fp_denorm_src 0
		.amdhsa_exception_fp_ieee_div_zero 0
		.amdhsa_exception_fp_ieee_overflow 0
		.amdhsa_exception_fp_ieee_underflow 0
		.amdhsa_exception_fp_ieee_inexact 0
		.amdhsa_exception_int_div_zero 0
	.end_amdhsa_kernel
	.section	.text._ZN7rocprim17ROCPRIM_304000_NS6detail18single_scan_kernelILb0ENS1_19wrapped_scan_configINS0_14default_configEiEEPKiPlSt4plusIvEiiEEvT1_mT4_T2_T3_,"axG",@progbits,_ZN7rocprim17ROCPRIM_304000_NS6detail18single_scan_kernelILb0ENS1_19wrapped_scan_configINS0_14default_configEiEEPKiPlSt4plusIvEiiEEvT1_mT4_T2_T3_,comdat
.Lfunc_end14:
	.size	_ZN7rocprim17ROCPRIM_304000_NS6detail18single_scan_kernelILb0ENS1_19wrapped_scan_configINS0_14default_configEiEEPKiPlSt4plusIvEiiEEvT1_mT4_T2_T3_, .Lfunc_end14-_ZN7rocprim17ROCPRIM_304000_NS6detail18single_scan_kernelILb0ENS1_19wrapped_scan_configINS0_14default_configEiEEPKiPlSt4plusIvEiiEEvT1_mT4_T2_T3_
                                        ; -- End function
	.section	.AMDGPU.csdata,"",@progbits
; Kernel info:
; codeLenInByte = 2964
; NumSgprs: 26
; NumVgprs: 43
; ScratchSize: 0
; MemoryBound: 0
; FloatMode: 240
; IeeeMode: 1
; LDSByteSize: 4224 bytes/workgroup (compile time only)
; SGPRBlocks: 3
; VGPRBlocks: 5
; NumSGPRsForWavesPerEU: 26
; NumVGPRsForWavesPerEU: 43
; Occupancy: 16
; WaveLimiterHint : 0
; COMPUTE_PGM_RSRC2:SCRATCH_EN: 0
; COMPUTE_PGM_RSRC2:USER_SGPR: 15
; COMPUTE_PGM_RSRC2:TRAP_HANDLER: 0
; COMPUTE_PGM_RSRC2:TGID_X_EN: 1
; COMPUTE_PGM_RSRC2:TGID_Y_EN: 0
; COMPUTE_PGM_RSRC2:TGID_Z_EN: 0
; COMPUTE_PGM_RSRC2:TIDIG_COMP_CNT: 0
	.section	.text._ZN7rocprim17ROCPRIM_304000_NS6detail20lookback_scan_kernelILNS1_25lookback_scan_determinismE0ELb1ENS1_19wrapped_scan_configINS0_14default_configEiEEPKiPiN2at4cuda3cub12_GLOBAL__N_15SumOpIiEEiiNS1_19lookback_scan_stateIiLb1ELb1EEEEEvT2_T3_mT5_T4_T7_jPT6_SO_bb,"axG",@progbits,_ZN7rocprim17ROCPRIM_304000_NS6detail20lookback_scan_kernelILNS1_25lookback_scan_determinismE0ELb1ENS1_19wrapped_scan_configINS0_14default_configEiEEPKiPiN2at4cuda3cub12_GLOBAL__N_15SumOpIiEEiiNS1_19lookback_scan_stateIiLb1ELb1EEEEEvT2_T3_mT5_T4_T7_jPT6_SO_bb,comdat
	.globl	_ZN7rocprim17ROCPRIM_304000_NS6detail20lookback_scan_kernelILNS1_25lookback_scan_determinismE0ELb1ENS1_19wrapped_scan_configINS0_14default_configEiEEPKiPiN2at4cuda3cub12_GLOBAL__N_15SumOpIiEEiiNS1_19lookback_scan_stateIiLb1ELb1EEEEEvT2_T3_mT5_T4_T7_jPT6_SO_bb ; -- Begin function _ZN7rocprim17ROCPRIM_304000_NS6detail20lookback_scan_kernelILNS1_25lookback_scan_determinismE0ELb1ENS1_19wrapped_scan_configINS0_14default_configEiEEPKiPiN2at4cuda3cub12_GLOBAL__N_15SumOpIiEEiiNS1_19lookback_scan_stateIiLb1ELb1EEEEEvT2_T3_mT5_T4_T7_jPT6_SO_bb
	.p2align	8
	.type	_ZN7rocprim17ROCPRIM_304000_NS6detail20lookback_scan_kernelILNS1_25lookback_scan_determinismE0ELb1ENS1_19wrapped_scan_configINS0_14default_configEiEEPKiPiN2at4cuda3cub12_GLOBAL__N_15SumOpIiEEiiNS1_19lookback_scan_stateIiLb1ELb1EEEEEvT2_T3_mT5_T4_T7_jPT6_SO_bb,@function
_ZN7rocprim17ROCPRIM_304000_NS6detail20lookback_scan_kernelILNS1_25lookback_scan_determinismE0ELb1ENS1_19wrapped_scan_configINS0_14default_configEiEEPKiPiN2at4cuda3cub12_GLOBAL__N_15SumOpIiEEiiNS1_19lookback_scan_stateIiLb1ELb1EEEEEvT2_T3_mT5_T4_T7_jPT6_SO_bb: ; @_ZN7rocprim17ROCPRIM_304000_NS6detail20lookback_scan_kernelILNS1_25lookback_scan_determinismE0ELb1ENS1_19wrapped_scan_configINS0_14default_configEiEEPKiPiN2at4cuda3cub12_GLOBAL__N_15SumOpIiEEiiNS1_19lookback_scan_stateIiLb1ELb1EEEEEvT2_T3_mT5_T4_T7_jPT6_SO_bb
; %bb.0:
	s_endpgm
	.section	.rodata,"a",@progbits
	.p2align	6, 0x0
	.amdhsa_kernel _ZN7rocprim17ROCPRIM_304000_NS6detail20lookback_scan_kernelILNS1_25lookback_scan_determinismE0ELb1ENS1_19wrapped_scan_configINS0_14default_configEiEEPKiPiN2at4cuda3cub12_GLOBAL__N_15SumOpIiEEiiNS1_19lookback_scan_stateIiLb1ELb1EEEEEvT2_T3_mT5_T4_T7_jPT6_SO_bb
		.amdhsa_group_segment_fixed_size 0
		.amdhsa_private_segment_fixed_size 0
		.amdhsa_kernarg_size 68
		.amdhsa_user_sgpr_count 15
		.amdhsa_user_sgpr_dispatch_ptr 0
		.amdhsa_user_sgpr_queue_ptr 0
		.amdhsa_user_sgpr_kernarg_segment_ptr 1
		.amdhsa_user_sgpr_dispatch_id 0
		.amdhsa_user_sgpr_private_segment_size 0
		.amdhsa_wavefront_size32 1
		.amdhsa_uses_dynamic_stack 0
		.amdhsa_enable_private_segment 0
		.amdhsa_system_sgpr_workgroup_id_x 1
		.amdhsa_system_sgpr_workgroup_id_y 0
		.amdhsa_system_sgpr_workgroup_id_z 0
		.amdhsa_system_sgpr_workgroup_info 0
		.amdhsa_system_vgpr_workitem_id 0
		.amdhsa_next_free_vgpr 1
		.amdhsa_next_free_sgpr 1
		.amdhsa_reserve_vcc 0
		.amdhsa_float_round_mode_32 0
		.amdhsa_float_round_mode_16_64 0
		.amdhsa_float_denorm_mode_32 3
		.amdhsa_float_denorm_mode_16_64 3
		.amdhsa_dx10_clamp 1
		.amdhsa_ieee_mode 1
		.amdhsa_fp16_overflow 0
		.amdhsa_workgroup_processor_mode 1
		.amdhsa_memory_ordered 1
		.amdhsa_forward_progress 0
		.amdhsa_shared_vgpr_count 0
		.amdhsa_exception_fp_ieee_invalid_op 0
		.amdhsa_exception_fp_denorm_src 0
		.amdhsa_exception_fp_ieee_div_zero 0
		.amdhsa_exception_fp_ieee_overflow 0
		.amdhsa_exception_fp_ieee_underflow 0
		.amdhsa_exception_fp_ieee_inexact 0
		.amdhsa_exception_int_div_zero 0
	.end_amdhsa_kernel
	.section	.text._ZN7rocprim17ROCPRIM_304000_NS6detail20lookback_scan_kernelILNS1_25lookback_scan_determinismE0ELb1ENS1_19wrapped_scan_configINS0_14default_configEiEEPKiPiN2at4cuda3cub12_GLOBAL__N_15SumOpIiEEiiNS1_19lookback_scan_stateIiLb1ELb1EEEEEvT2_T3_mT5_T4_T7_jPT6_SO_bb,"axG",@progbits,_ZN7rocprim17ROCPRIM_304000_NS6detail20lookback_scan_kernelILNS1_25lookback_scan_determinismE0ELb1ENS1_19wrapped_scan_configINS0_14default_configEiEEPKiPiN2at4cuda3cub12_GLOBAL__N_15SumOpIiEEiiNS1_19lookback_scan_stateIiLb1ELb1EEEEEvT2_T3_mT5_T4_T7_jPT6_SO_bb,comdat
.Lfunc_end15:
	.size	_ZN7rocprim17ROCPRIM_304000_NS6detail20lookback_scan_kernelILNS1_25lookback_scan_determinismE0ELb1ENS1_19wrapped_scan_configINS0_14default_configEiEEPKiPiN2at4cuda3cub12_GLOBAL__N_15SumOpIiEEiiNS1_19lookback_scan_stateIiLb1ELb1EEEEEvT2_T3_mT5_T4_T7_jPT6_SO_bb, .Lfunc_end15-_ZN7rocprim17ROCPRIM_304000_NS6detail20lookback_scan_kernelILNS1_25lookback_scan_determinismE0ELb1ENS1_19wrapped_scan_configINS0_14default_configEiEEPKiPiN2at4cuda3cub12_GLOBAL__N_15SumOpIiEEiiNS1_19lookback_scan_stateIiLb1ELb1EEEEEvT2_T3_mT5_T4_T7_jPT6_SO_bb
                                        ; -- End function
	.section	.AMDGPU.csdata,"",@progbits
; Kernel info:
; codeLenInByte = 4
; NumSgprs: 0
; NumVgprs: 0
; ScratchSize: 0
; MemoryBound: 0
; FloatMode: 240
; IeeeMode: 1
; LDSByteSize: 0 bytes/workgroup (compile time only)
; SGPRBlocks: 0
; VGPRBlocks: 0
; NumSGPRsForWavesPerEU: 1
; NumVGPRsForWavesPerEU: 1
; Occupancy: 16
; WaveLimiterHint : 0
; COMPUTE_PGM_RSRC2:SCRATCH_EN: 0
; COMPUTE_PGM_RSRC2:USER_SGPR: 15
; COMPUTE_PGM_RSRC2:TRAP_HANDLER: 0
; COMPUTE_PGM_RSRC2:TGID_X_EN: 1
; COMPUTE_PGM_RSRC2:TGID_Y_EN: 0
; COMPUTE_PGM_RSRC2:TGID_Z_EN: 0
; COMPUTE_PGM_RSRC2:TIDIG_COMP_CNT: 0
	.section	.text._ZN7rocprim17ROCPRIM_304000_NS6detail20lookback_scan_kernelILNS1_25lookback_scan_determinismE0ELb1ENS1_19wrapped_scan_configINS0_14default_configEiEEPKiPiN2at4cuda3cub12_GLOBAL__N_15SumOpIiEEiiNS1_19lookback_scan_stateIiLb0ELb1EEEEEvT2_T3_mT5_T4_T7_jPT6_SO_bb,"axG",@progbits,_ZN7rocprim17ROCPRIM_304000_NS6detail20lookback_scan_kernelILNS1_25lookback_scan_determinismE0ELb1ENS1_19wrapped_scan_configINS0_14default_configEiEEPKiPiN2at4cuda3cub12_GLOBAL__N_15SumOpIiEEiiNS1_19lookback_scan_stateIiLb0ELb1EEEEEvT2_T3_mT5_T4_T7_jPT6_SO_bb,comdat
	.globl	_ZN7rocprim17ROCPRIM_304000_NS6detail20lookback_scan_kernelILNS1_25lookback_scan_determinismE0ELb1ENS1_19wrapped_scan_configINS0_14default_configEiEEPKiPiN2at4cuda3cub12_GLOBAL__N_15SumOpIiEEiiNS1_19lookback_scan_stateIiLb0ELb1EEEEEvT2_T3_mT5_T4_T7_jPT6_SO_bb ; -- Begin function _ZN7rocprim17ROCPRIM_304000_NS6detail20lookback_scan_kernelILNS1_25lookback_scan_determinismE0ELb1ENS1_19wrapped_scan_configINS0_14default_configEiEEPKiPiN2at4cuda3cub12_GLOBAL__N_15SumOpIiEEiiNS1_19lookback_scan_stateIiLb0ELb1EEEEEvT2_T3_mT5_T4_T7_jPT6_SO_bb
	.p2align	8
	.type	_ZN7rocprim17ROCPRIM_304000_NS6detail20lookback_scan_kernelILNS1_25lookback_scan_determinismE0ELb1ENS1_19wrapped_scan_configINS0_14default_configEiEEPKiPiN2at4cuda3cub12_GLOBAL__N_15SumOpIiEEiiNS1_19lookback_scan_stateIiLb0ELb1EEEEEvT2_T3_mT5_T4_T7_jPT6_SO_bb,@function
_ZN7rocprim17ROCPRIM_304000_NS6detail20lookback_scan_kernelILNS1_25lookback_scan_determinismE0ELb1ENS1_19wrapped_scan_configINS0_14default_configEiEEPKiPiN2at4cuda3cub12_GLOBAL__N_15SumOpIiEEiiNS1_19lookback_scan_stateIiLb0ELb1EEEEEvT2_T3_mT5_T4_T7_jPT6_SO_bb: ; @_ZN7rocprim17ROCPRIM_304000_NS6detail20lookback_scan_kernelILNS1_25lookback_scan_determinismE0ELb1ENS1_19wrapped_scan_configINS0_14default_configEiEEPKiPiN2at4cuda3cub12_GLOBAL__N_15SumOpIiEEiiNS1_19lookback_scan_stateIiLb0ELb1EEEEEvT2_T3_mT5_T4_T7_jPT6_SO_bb
; %bb.0:
	s_clause 0x2
	s_load_b32 s10, s[0:1], 0x28
	s_load_b64 s[2:3], s[0:1], 0x10
	s_load_b128 s[4:7], s[0:1], 0x0
	s_lshl_b32 s8, s15, 10
	s_mov_b32 s9, 0
	v_lshlrev_b32_e32 v48, 2, v0
	v_lshrrev_b32_e32 v19, 3, v0
	v_or_b32_e32 v47, 64, v0
	v_or_b32_e32 v46, 0x80, v0
	;; [unrolled: 1-line block ×13, first 2 shown]
	s_waitcnt lgkmcnt(0)
	s_add_i32 s10, s10, -1
	v_or_b32_e32 v34, 0x380, v0
	s_lshl_b32 s11, s10, 10
	v_or_b32_e32 v33, 0x3c0, v0
	s_sub_u32 s14, s2, s11
	s_subb_u32 s33, s3, 0
	s_cmp_lg_u32 s15, s10
	s_mov_b32 s3, -1
	s_cselect_b32 s34, -1, 0
	s_lshl_b64 s[12:13], s[8:9], 2
	s_delay_alu instid0(SALU_CYCLE_1)
	s_add_u32 s8, s4, s12
	s_addc_u32 s9, s5, s13
	s_and_b32 vcc_lo, exec_lo, s34
	s_cbranch_vccz .LBB16_2
; %bb.1:
	s_clause 0xf
	global_load_b32 v1, v48, s[8:9]
	global_load_b32 v2, v48, s[8:9] offset:256
	global_load_b32 v3, v48, s[8:9] offset:512
	;; [unrolled: 1-line block ×15, first 2 shown]
	v_lshrrev_b32_e32 v18, 3, v47
	v_lshrrev_b32_e32 v20, 3, v46
	;; [unrolled: 1-line block ×4, first 2 shown]
	v_and_b32_e32 v17, 4, v19
	v_lshrrev_b32_e32 v23, 3, v43
	v_lshrrev_b32_e32 v24, 3, v42
	;; [unrolled: 1-line block ×11, first 2 shown]
	v_and_b32_e32 v18, 12, v18
	v_and_b32_e32 v20, 20, v20
	;; [unrolled: 1-line block ×4, first 2 shown]
	v_add_nc_u32_e32 v17, v17, v48
	v_and_b32_e32 v23, 44, v23
	v_and_b32_e32 v24, 52, v24
	;; [unrolled: 1-line block ×11, first 2 shown]
	v_add_nc_u32_e32 v18, v18, v48
	v_add_nc_u32_e32 v20, v20, v48
	v_add_nc_u32_e32 v21, v21, v48
	v_add_nc_u32_e32 v22, v22, v48
	s_mov_b32 s3, 0
	v_add_nc_u32_e32 v23, v23, v48
	v_add_nc_u32_e32 v24, v24, v48
	;; [unrolled: 1-line block ×11, first 2 shown]
	s_waitcnt vmcnt(15)
	ds_store_b32 v17, v1
	s_waitcnt vmcnt(14)
	ds_store_b32 v18, v2 offset:256
	s_waitcnt vmcnt(13)
	ds_store_b32 v20, v3 offset:512
	;; [unrolled: 2-line block ×15, first 2 shown]
	s_waitcnt lgkmcnt(0)
	s_barrier
.LBB16_2:
	v_cmp_gt_u32_e64 s2, s14, v0
	s_and_not1_b32 vcc_lo, exec_lo, s3
	s_cbranch_vccnz .LBB16_21
; %bb.3:
	s_load_b32 s16, s[8:9], 0x0
	v_add_co_u32 v17, s3, s8, v48
	s_delay_alu instid0(VALU_DEP_1)
	v_add_co_ci_u32_e64 v18, null, s9, 0, s3
	s_waitcnt lgkmcnt(0)
	s_mov_b32 s17, s16
	s_mov_b32 s18, s16
	s_mov_b32 s19, s16
	s_mov_b32 s20, s16
	s_mov_b32 s21, s16
	s_mov_b32 s22, s16
	s_mov_b32 s23, s16
	s_mov_b32 s24, s16
	s_mov_b32 s25, s16
	s_mov_b32 s26, s16
	s_mov_b32 s27, s16
	s_mov_b32 s28, s16
	s_mov_b32 s29, s16
	s_mov_b32 s30, s16
	s_mov_b32 s31, s16
	v_dual_mov_b32 v1, s16 :: v_dual_mov_b32 v2, s17
	v_dual_mov_b32 v3, s18 :: v_dual_mov_b32 v4, s19
	;; [unrolled: 1-line block ×8, first 2 shown]
	v_mov_b32_e32 v20, s16
	s_and_saveexec_b32 s3, s2
	s_cbranch_execnz .LBB16_49
; %bb.4:
	s_or_b32 exec_lo, exec_lo, s3
	s_delay_alu instid0(SALU_CYCLE_1)
	s_mov_b32 s2, exec_lo
	v_cmpx_gt_u32_e64 s14, v47
	s_cbranch_execnz .LBB16_50
.LBB16_5:
	s_or_b32 exec_lo, exec_lo, s2
	s_delay_alu instid0(SALU_CYCLE_1)
	s_mov_b32 s2, exec_lo
	v_cmpx_gt_u32_e64 s14, v46
	s_cbranch_execnz .LBB16_51
.LBB16_6:
	s_or_b32 exec_lo, exec_lo, s2
	s_delay_alu instid0(SALU_CYCLE_1)
	s_mov_b32 s2, exec_lo
	v_cmpx_gt_u32_e64 s14, v45
	s_cbranch_execnz .LBB16_52
.LBB16_7:
	s_or_b32 exec_lo, exec_lo, s2
	s_delay_alu instid0(SALU_CYCLE_1)
	s_mov_b32 s2, exec_lo
	v_cmpx_gt_u32_e64 s14, v44
	s_cbranch_execnz .LBB16_53
.LBB16_8:
	s_or_b32 exec_lo, exec_lo, s2
	s_delay_alu instid0(SALU_CYCLE_1)
	s_mov_b32 s2, exec_lo
	v_cmpx_gt_u32_e64 s14, v43
	s_cbranch_execnz .LBB16_54
.LBB16_9:
	s_or_b32 exec_lo, exec_lo, s2
	s_delay_alu instid0(SALU_CYCLE_1)
	s_mov_b32 s2, exec_lo
	v_cmpx_gt_u32_e64 s14, v42
	s_cbranch_execnz .LBB16_55
.LBB16_10:
	s_or_b32 exec_lo, exec_lo, s2
	s_delay_alu instid0(SALU_CYCLE_1)
	s_mov_b32 s2, exec_lo
	v_cmpx_gt_u32_e64 s14, v41
	s_cbranch_execnz .LBB16_56
.LBB16_11:
	s_or_b32 exec_lo, exec_lo, s2
	s_delay_alu instid0(SALU_CYCLE_1)
	s_mov_b32 s2, exec_lo
	v_cmpx_gt_u32_e64 s14, v40
	s_cbranch_execnz .LBB16_57
.LBB16_12:
	s_or_b32 exec_lo, exec_lo, s2
	s_delay_alu instid0(SALU_CYCLE_1)
	s_mov_b32 s2, exec_lo
	v_cmpx_gt_u32_e64 s14, v39
	s_cbranch_execnz .LBB16_58
.LBB16_13:
	s_or_b32 exec_lo, exec_lo, s2
	s_delay_alu instid0(SALU_CYCLE_1)
	s_mov_b32 s2, exec_lo
	v_cmpx_gt_u32_e64 s14, v38
	s_cbranch_execnz .LBB16_59
.LBB16_14:
	s_or_b32 exec_lo, exec_lo, s2
	s_delay_alu instid0(SALU_CYCLE_1)
	s_mov_b32 s2, exec_lo
	v_cmpx_gt_u32_e64 s14, v37
	s_cbranch_execnz .LBB16_60
.LBB16_15:
	s_or_b32 exec_lo, exec_lo, s2
	s_delay_alu instid0(SALU_CYCLE_1)
	s_mov_b32 s2, exec_lo
	v_cmpx_gt_u32_e64 s14, v36
	s_cbranch_execnz .LBB16_61
.LBB16_16:
	s_or_b32 exec_lo, exec_lo, s2
	s_delay_alu instid0(SALU_CYCLE_1)
	s_mov_b32 s2, exec_lo
	v_cmpx_gt_u32_e64 s14, v35
	s_cbranch_execnz .LBB16_62
.LBB16_17:
	s_or_b32 exec_lo, exec_lo, s2
	s_delay_alu instid0(SALU_CYCLE_1)
	s_mov_b32 s2, exec_lo
	v_cmpx_gt_u32_e64 s14, v34
	s_cbranch_execnz .LBB16_63
.LBB16_18:
	s_or_b32 exec_lo, exec_lo, s2
	s_delay_alu instid0(SALU_CYCLE_1)
	s_mov_b32 s2, exec_lo
	v_cmpx_gt_u32_e64 s14, v33
	s_cbranch_execz .LBB16_20
.LBB16_19:
	global_load_b32 v16, v[17:18], off offset:3840
.LBB16_20:
	s_or_b32 exec_lo, exec_lo, s2
	v_lshrrev_b32_e32 v1, 3, v47
	v_lshrrev_b32_e32 v17, 3, v46
	v_and_b32_e32 v18, 4, v19
	v_lshrrev_b32_e32 v19, 3, v45
	v_lshrrev_b32_e32 v21, 3, v44
	;; [unrolled: 1-line block ×5, first 2 shown]
	v_and_b32_e32 v1, 12, v1
	v_and_b32_e32 v17, 28, v17
	;; [unrolled: 1-line block ×4, first 2 shown]
	v_add_nc_u32_e32 v18, v18, v48
	v_and_b32_e32 v22, 60, v22
	v_and_b32_e32 v23, 60, v23
	;; [unrolled: 1-line block ×3, first 2 shown]
	v_add_nc_u32_e32 v1, v1, v48
	v_add_nc_u32_e32 v17, v17, v48
	v_lshrrev_b32_e32 v25, 3, v40
	v_add_nc_u32_e32 v19, v19, v48
	v_lshrrev_b32_e32 v26, 3, v39
	;; [unrolled: 2-line block ×3, first 2 shown]
	v_add_nc_u32_e32 v22, v22, v48
	v_add_nc_u32_e32 v23, v23, v48
	;; [unrolled: 1-line block ×3, first 2 shown]
	s_waitcnt vmcnt(0)
	ds_store_b32 v18, v20
	ds_store_b32 v1, v2 offset:256
	ds_store_b32 v17, v3 offset:512
	;; [unrolled: 1-line block ×7, first 2 shown]
	v_lshrrev_b32_e32 v4, 3, v37
	v_lshrrev_b32_e32 v5, 3, v36
	v_and_b32_e32 v25, 0x7c, v25
	v_lshrrev_b32_e32 v6, 3, v35
	v_lshrrev_b32_e32 v7, 3, v34
	;; [unrolled: 1-line block ×3, first 2 shown]
	v_and_b32_e32 v26, 0x7c, v26
	v_and_b32_e32 v27, 0x7c, v27
	;; [unrolled: 1-line block ×4, first 2 shown]
	v_add_nc_u32_e32 v1, v25, v48
	v_and_b32_e32 v6, 0x7c, v6
	v_and_b32_e32 v7, 0x7c, v7
	;; [unrolled: 1-line block ×3, first 2 shown]
	v_add_nc_u32_e32 v2, v26, v48
	v_add_nc_u32_e32 v3, v27, v48
	v_add_nc_u32_e32 v4, v4, v48
	v_add_nc_u32_e32 v5, v5, v48
	v_add_nc_u32_e32 v6, v6, v48
	v_add_nc_u32_e32 v7, v7, v48
	v_add_nc_u32_e32 v8, v8, v48
	ds_store_b32 v1, v9 offset:2048
	ds_store_b32 v2, v10 offset:2304
	;; [unrolled: 1-line block ×8, first 2 shown]
	s_waitcnt lgkmcnt(0)
	s_barrier
.LBB16_21:
	v_lshlrev_b32_e32 v1, 4, v0
	v_lshrrev_b32_e32 v50, 1, v0
	buffer_gl0_inv
	s_load_b64 s[16:17], s[0:1], 0x20
	v_lshrrev_b32_e32 v49, 5, v0
	v_cmp_gt_u32_e32 vcc_lo, 32, v0
	v_add_lshl_u32 v1, v50, v1, 2
	s_cmp_lg_u32 s15, 0
	ds_load_2addr_b32 v[29:30], v1 offset1:1
	ds_load_2addr_b32 v[31:32], v1 offset0:2 offset1:3
	ds_load_2addr_b32 v[27:28], v1 offset0:4 offset1:5
	;; [unrolled: 1-line block ×7, first 2 shown]
	s_waitcnt lgkmcnt(0)
	s_barrier
	buffer_gl0_inv
	v_add_nc_u32_e32 v1, v30, v29
	s_delay_alu instid0(VALU_DEP_1)
	v_add3_u32 v51, v1, v31, v32
	s_cbranch_scc0 .LBB16_46
; %bb.22:
	s_delay_alu instid0(VALU_DEP_1) | instskip(SKIP_1) | instid1(VALU_DEP_2)
	v_add3_u32 v1, v51, v27, v28
	v_add_lshl_u32 v2, v49, v0, 2
	v_add3_u32 v1, v1, v25, v26
	s_delay_alu instid0(VALU_DEP_1) | instskip(NEXT) | instid1(VALU_DEP_1)
	v_add3_u32 v1, v1, v23, v24
	v_add3_u32 v1, v1, v21, v22
	s_delay_alu instid0(VALU_DEP_1) | instskip(NEXT) | instid1(VALU_DEP_1)
	v_add3_u32 v1, v1, v17, v18
	v_add3_u32 v1, v1, v19, v20
	ds_store_b32 v2, v1
	s_waitcnt lgkmcnt(0)
	s_barrier
	buffer_gl0_inv
	s_and_saveexec_b32 s3, vcc_lo
	s_cbranch_execz .LBB16_24
; %bb.23:
	v_lshrrev_b32_e32 v2, 2, v0
	v_mbcnt_lo_u32_b32 v5, -1, 0
	s_delay_alu instid0(VALU_DEP_2) | instskip(NEXT) | instid1(VALU_DEP_2)
	v_and_b32_e32 v2, 12, v2
	v_and_b32_e32 v7, 15, v5
	v_add_nc_u32_e32 v9, -1, v5
	s_delay_alu instid0(VALU_DEP_3) | instskip(NEXT) | instid1(VALU_DEP_3)
	v_lshl_or_b32 v4, v0, 3, v2
	v_cmp_ne_u32_e64 s2, 0, v7
	ds_load_2addr_b32 v[2:3], v4 offset1:1
	s_waitcnt lgkmcnt(0)
	v_add_nc_u32_e32 v6, v3, v2
	s_delay_alu instid0(VALU_DEP_1) | instskip(NEXT) | instid1(VALU_DEP_1)
	v_mov_b32_dpp v8, v6 row_shr:1 row_mask:0xf bank_mask:0xf
	v_cndmask_b32_e64 v8, 0, v8, s2
	v_cmp_lt_u32_e64 s2, 1, v7
	s_delay_alu instid0(VALU_DEP_2) | instskip(NEXT) | instid1(VALU_DEP_1)
	v_add_nc_u32_e32 v6, v8, v6
	v_mov_b32_dpp v8, v6 row_shr:2 row_mask:0xf bank_mask:0xf
	s_delay_alu instid0(VALU_DEP_1) | instskip(SKIP_1) | instid1(VALU_DEP_2)
	v_cndmask_b32_e64 v8, 0, v8, s2
	v_cmp_lt_u32_e64 s2, 3, v7
	v_add_nc_u32_e32 v6, v6, v8
	s_delay_alu instid0(VALU_DEP_1) | instskip(NEXT) | instid1(VALU_DEP_1)
	v_mov_b32_dpp v8, v6 row_shr:4 row_mask:0xf bank_mask:0xf
	v_cndmask_b32_e64 v8, 0, v8, s2
	v_cmp_lt_u32_e64 s2, 7, v7
	s_delay_alu instid0(VALU_DEP_2) | instskip(NEXT) | instid1(VALU_DEP_1)
	v_add_nc_u32_e32 v6, v6, v8
	v_mov_b32_dpp v8, v6 row_shr:8 row_mask:0xf bank_mask:0xf
	s_delay_alu instid0(VALU_DEP_1) | instskip(SKIP_2) | instid1(VALU_DEP_3)
	v_cndmask_b32_e64 v7, 0, v8, s2
	v_bfe_i32 v8, v5, 4, 1
	v_cmp_gt_i32_e64 s2, 0, v9
	v_add_nc_u32_e32 v6, v6, v7
	s_delay_alu instid0(VALU_DEP_2)
	v_cndmask_b32_e64 v5, v9, v5, s2
	v_cmp_eq_u32_e64 s2, 0, v0
	ds_swizzle_b32 v7, v6 offset:swizzle(BROADCAST,32,15)
	v_lshlrev_b32_e32 v5, 2, v5
	s_waitcnt lgkmcnt(0)
	v_and_b32_e32 v7, v8, v7
	s_delay_alu instid0(VALU_DEP_1) | instskip(SKIP_3) | instid1(VALU_DEP_1)
	v_add_nc_u32_e32 v6, v6, v7
	ds_bpermute_b32 v5, v5, v6
	s_waitcnt lgkmcnt(0)
	v_add_nc_u32_e32 v2, v5, v2
	v_cndmask_b32_e64 v1, v2, v1, s2
	s_delay_alu instid0(VALU_DEP_1)
	v_add_nc_u32_e32 v2, v1, v3
	ds_store_2addr_b32 v4, v1, v2 offset1:1
.LBB16_24:
	s_or_b32 exec_lo, exec_lo, s3
	v_cmp_eq_u32_e64 s2, 0, v0
	v_mov_b32_e32 v8, 0
	s_mov_b32 s8, exec_lo
	s_waitcnt lgkmcnt(0)
	s_barrier
	buffer_gl0_inv
	v_cmpx_ne_u32_e32 0, v0
	s_cbranch_execz .LBB16_26
; %bb.25:
	v_add_nc_u32_e32 v1, -1, v0
	s_delay_alu instid0(VALU_DEP_1) | instskip(NEXT) | instid1(VALU_DEP_1)
	v_lshrrev_b32_e32 v2, 5, v1
	v_add_lshl_u32 v1, v2, v1, 2
	ds_load_b32 v8, v1
.LBB16_26:
	s_or_b32 exec_lo, exec_lo, s8
	s_and_saveexec_b32 s10, vcc_lo
	s_cbranch_execz .LBB16_45
; %bb.27:
	v_mov_b32_e32 v4, 0
	v_mbcnt_lo_u32_b32 v16, -1, 0
	s_mov_b32 s9, 0
	ds_load_b32 v1, v4 offset:256
	v_cmp_eq_u32_e64 s3, 0, v16
	s_delay_alu instid0(VALU_DEP_1)
	s_and_saveexec_b32 s11, s3
	s_cbranch_execz .LBB16_29
; %bb.28:
	s_add_i32 s8, s15, 32
	v_mov_b32_e32 v2, 1
	s_lshl_b64 s[8:9], s[8:9], 3
	s_delay_alu instid0(SALU_CYCLE_1)
	s_add_u32 s8, s16, s8
	s_addc_u32 s9, s17, s9
	s_waitcnt lgkmcnt(0)
	global_store_b64 v4, v[1:2], s[8:9]
.LBB16_29:
	s_or_b32 exec_lo, exec_lo, s11
	v_xad_u32 v2, v16, -1, s15
	s_mov_b32 s8, exec_lo
	s_delay_alu instid0(VALU_DEP_1) | instskip(NEXT) | instid1(VALU_DEP_1)
	v_add_nc_u32_e32 v3, 32, v2
	v_lshlrev_b64 v[3:4], 3, v[3:4]
	s_delay_alu instid0(VALU_DEP_1) | instskip(NEXT) | instid1(VALU_DEP_2)
	v_add_co_u32 v6, vcc_lo, s16, v3
	v_add_co_ci_u32_e32 v7, vcc_lo, s17, v4, vcc_lo
	global_load_b64 v[4:5], v[6:7], off glc
	s_waitcnt vmcnt(0)
	v_and_b32_e32 v3, 0xff, v5
	s_delay_alu instid0(VALU_DEP_1)
	v_cmpx_eq_u16_e32 0, v3
	s_cbranch_execz .LBB16_33
; %bb.30:
	s_mov_b32 s9, 0
.LBB16_31:                              ; =>This Inner Loop Header: Depth=1
	global_load_b64 v[4:5], v[6:7], off glc
	s_waitcnt vmcnt(0)
	v_and_b32_e32 v3, 0xff, v5
	s_delay_alu instid0(VALU_DEP_1) | instskip(SKIP_1) | instid1(SALU_CYCLE_1)
	v_cmp_ne_u16_e32 vcc_lo, 0, v3
	s_or_b32 s9, vcc_lo, s9
	s_and_not1_b32 exec_lo, exec_lo, s9
	s_cbranch_execnz .LBB16_31
; %bb.32:
	s_or_b32 exec_lo, exec_lo, s9
.LBB16_33:
	s_delay_alu instid0(SALU_CYCLE_1)
	s_or_b32 exec_lo, exec_lo, s8
	v_cmp_ne_u32_e32 vcc_lo, 31, v16
	v_lshlrev_b32_e64 v10, v16, -1
	v_add_nc_u32_e32 v11, 1, v16
	v_add_nc_u32_e32 v13, 2, v16
	v_add_nc_u32_e32 v15, 4, v16
	v_add_co_ci_u32_e32 v3, vcc_lo, 0, v16, vcc_lo
	v_add_nc_u32_e32 v53, 8, v16
	v_add_nc_u32_e32 v55, 16, v16
	s_delay_alu instid0(VALU_DEP_3)
	v_lshlrev_b32_e32 v9, 2, v3
	v_and_b32_e32 v3, 0xff, v5
	ds_bpermute_b32 v6, v9, v4
	v_cmp_eq_u16_e32 vcc_lo, 2, v3
	v_and_or_b32 v3, vcc_lo, v10, 0x80000000
	v_cmp_gt_u32_e32 vcc_lo, 30, v16
	s_delay_alu instid0(VALU_DEP_2) | instskip(SKIP_1) | instid1(VALU_DEP_2)
	v_ctz_i32_b32_e32 v3, v3
	v_cndmask_b32_e64 v7, 0, 1, vcc_lo
	v_cmp_le_u32_e32 vcc_lo, v11, v3
	s_waitcnt lgkmcnt(0)
	s_delay_alu instid0(VALU_DEP_2) | instskip(NEXT) | instid1(VALU_DEP_1)
	v_dual_cndmask_b32 v6, 0, v6 :: v_dual_lshlrev_b32 v7, 1, v7
	v_add_lshl_u32 v12, v7, v16, 2
	v_cmp_gt_u32_e32 vcc_lo, 28, v16
	s_delay_alu instid0(VALU_DEP_3) | instskip(SKIP_4) | instid1(VALU_DEP_1)
	v_add_nc_u32_e32 v4, v6, v4
	v_cndmask_b32_e64 v7, 0, 1, vcc_lo
	v_cmp_le_u32_e32 vcc_lo, v13, v3
	ds_bpermute_b32 v6, v12, v4
	v_lshlrev_b32_e32 v7, 2, v7
	v_add_lshl_u32 v14, v7, v16, 2
	s_waitcnt lgkmcnt(0)
	v_cndmask_b32_e32 v6, 0, v6, vcc_lo
	v_cmp_gt_u32_e32 vcc_lo, 24, v16
	s_delay_alu instid0(VALU_DEP_2) | instskip(SKIP_4) | instid1(VALU_DEP_1)
	v_add_nc_u32_e32 v4, v4, v6
	v_cndmask_b32_e64 v7, 0, 1, vcc_lo
	v_cmp_le_u32_e32 vcc_lo, v15, v3
	ds_bpermute_b32 v6, v14, v4
	v_lshlrev_b32_e32 v7, 3, v7
	v_add_lshl_u32 v52, v7, v16, 2
	s_waitcnt lgkmcnt(0)
	v_cndmask_b32_e32 v6, 0, v6, vcc_lo
	v_cmp_gt_u32_e32 vcc_lo, 16, v16
	s_delay_alu instid0(VALU_DEP_2) | instskip(SKIP_4) | instid1(VALU_DEP_1)
	v_add_nc_u32_e32 v4, v4, v6
	v_cndmask_b32_e64 v7, 0, 1, vcc_lo
	v_cmp_le_u32_e32 vcc_lo, v53, v3
	ds_bpermute_b32 v6, v52, v4
	v_lshlrev_b32_e32 v7, 4, v7
	v_add_lshl_u32 v54, v7, v16, 2
	s_waitcnt lgkmcnt(0)
	v_cndmask_b32_e32 v6, 0, v6, vcc_lo
	v_cmp_le_u32_e32 vcc_lo, v55, v3
	s_delay_alu instid0(VALU_DEP_2) | instskip(SKIP_3) | instid1(VALU_DEP_1)
	v_add_nc_u32_e32 v4, v4, v6
	ds_bpermute_b32 v6, v54, v4
	s_waitcnt lgkmcnt(0)
	v_cndmask_b32_e32 v3, 0, v6, vcc_lo
	v_dual_mov_b32 v3, 0 :: v_dual_add_nc_u32 v4, v4, v3
	s_branch .LBB16_35
.LBB16_34:                              ;   in Loop: Header=BB16_35 Depth=1
	s_or_b32 exec_lo, exec_lo, s8
	ds_bpermute_b32 v7, v9, v4
	v_and_b32_e32 v6, 0xff, v5
	v_subrev_nc_u32_e32 v2, 32, v2
	s_delay_alu instid0(VALU_DEP_2) | instskip(SKIP_1) | instid1(VALU_DEP_1)
	v_cmp_eq_u16_e32 vcc_lo, 2, v6
	v_and_or_b32 v6, vcc_lo, v10, 0x80000000
	v_ctz_i32_b32_e32 v6, v6
	s_delay_alu instid0(VALU_DEP_1) | instskip(SKIP_3) | instid1(VALU_DEP_2)
	v_cmp_le_u32_e32 vcc_lo, v11, v6
	s_waitcnt lgkmcnt(0)
	v_cndmask_b32_e32 v7, 0, v7, vcc_lo
	v_cmp_le_u32_e32 vcc_lo, v13, v6
	v_add_nc_u32_e32 v4, v7, v4
	ds_bpermute_b32 v7, v12, v4
	s_waitcnt lgkmcnt(0)
	v_cndmask_b32_e32 v7, 0, v7, vcc_lo
	v_cmp_le_u32_e32 vcc_lo, v15, v6
	s_delay_alu instid0(VALU_DEP_2) | instskip(SKIP_4) | instid1(VALU_DEP_2)
	v_add_nc_u32_e32 v4, v4, v7
	ds_bpermute_b32 v7, v14, v4
	s_waitcnt lgkmcnt(0)
	v_cndmask_b32_e32 v7, 0, v7, vcc_lo
	v_cmp_le_u32_e32 vcc_lo, v53, v6
	v_add_nc_u32_e32 v4, v4, v7
	ds_bpermute_b32 v7, v52, v4
	s_waitcnt lgkmcnt(0)
	v_cndmask_b32_e32 v7, 0, v7, vcc_lo
	v_cmp_le_u32_e32 vcc_lo, v55, v6
	s_delay_alu instid0(VALU_DEP_2) | instskip(SKIP_3) | instid1(VALU_DEP_1)
	v_add_nc_u32_e32 v4, v4, v7
	ds_bpermute_b32 v7, v54, v4
	s_waitcnt lgkmcnt(0)
	v_cndmask_b32_e32 v6, 0, v7, vcc_lo
	v_add3_u32 v4, v6, v16, v4
.LBB16_35:                              ; =>This Loop Header: Depth=1
                                        ;     Child Loop BB16_38 Depth 2
	s_delay_alu instid0(VALU_DEP_1) | instskip(NEXT) | instid1(VALU_DEP_1)
	v_dual_mov_b32 v16, v4 :: v_dual_and_b32 v5, 0xff, v5
	v_cmp_ne_u16_e32 vcc_lo, 2, v5
	v_cndmask_b32_e64 v5, 0, 1, vcc_lo
	;;#ASMSTART
	;;#ASMEND
	s_delay_alu instid0(VALU_DEP_1)
	v_cmp_ne_u32_e32 vcc_lo, 0, v5
	s_cmp_lg_u32 vcc_lo, exec_lo
	s_cbranch_scc1 .LBB16_40
; %bb.36:                               ;   in Loop: Header=BB16_35 Depth=1
	v_lshlrev_b64 v[4:5], 3, v[2:3]
	s_mov_b32 s8, exec_lo
	s_delay_alu instid0(VALU_DEP_1) | instskip(NEXT) | instid1(VALU_DEP_2)
	v_add_co_u32 v6, vcc_lo, s16, v4
	v_add_co_ci_u32_e32 v7, vcc_lo, s17, v5, vcc_lo
	global_load_b64 v[4:5], v[6:7], off glc
	s_waitcnt vmcnt(0)
	v_and_b32_e32 v56, 0xff, v5
	s_delay_alu instid0(VALU_DEP_1)
	v_cmpx_eq_u16_e32 0, v56
	s_cbranch_execz .LBB16_34
; %bb.37:                               ;   in Loop: Header=BB16_35 Depth=1
	s_mov_b32 s9, 0
.LBB16_38:                              ;   Parent Loop BB16_35 Depth=1
                                        ; =>  This Inner Loop Header: Depth=2
	global_load_b64 v[4:5], v[6:7], off glc
	s_waitcnt vmcnt(0)
	v_and_b32_e32 v56, 0xff, v5
	s_delay_alu instid0(VALU_DEP_1) | instskip(SKIP_1) | instid1(SALU_CYCLE_1)
	v_cmp_ne_u16_e32 vcc_lo, 0, v56
	s_or_b32 s9, vcc_lo, s9
	s_and_not1_b32 exec_lo, exec_lo, s9
	s_cbranch_execnz .LBB16_38
; %bb.39:                               ;   in Loop: Header=BB16_35 Depth=1
	s_or_b32 exec_lo, exec_lo, s9
	s_branch .LBB16_34
.LBB16_40:                              ;   in Loop: Header=BB16_35 Depth=1
                                        ; implicit-def: $vgpr4
                                        ; implicit-def: $vgpr5
	s_cbranch_execz .LBB16_35
; %bb.41:
	s_and_saveexec_b32 s8, s3
	s_cbranch_execz .LBB16_43
; %bb.42:
	s_add_i32 s18, s15, 32
	s_mov_b32 s19, 0
	v_dual_mov_b32 v3, 0 :: v_dual_mov_b32 v2, 2
	s_lshl_b64 s[18:19], s[18:19], 3
	v_add_nc_u32_e32 v1, v16, v1
	s_add_u32 s18, s16, s18
	s_addc_u32 s19, s17, s19
	global_store_b64 v3, v[1:2], s[18:19]
.LBB16_43:
	s_or_b32 exec_lo, exec_lo, s8
	s_delay_alu instid0(SALU_CYCLE_1)
	s_and_b32 exec_lo, exec_lo, s2
	s_cbranch_execz .LBB16_45
; %bb.44:
	v_mov_b32_e32 v1, 0
	ds_store_b32 v1, v16
.LBB16_45:
	s_or_b32 exec_lo, exec_lo, s10
	v_mov_b32_e32 v1, 0
	s_waitcnt lgkmcnt(0)
	s_waitcnt_vscnt null, 0x0
	s_barrier
	buffer_gl0_inv
	ds_load_b32 v1, v1
	s_waitcnt lgkmcnt(0)
	v_add_nc_u32_e32 v1, v1, v8
	s_delay_alu instid0(VALU_DEP_1) | instskip(NEXT) | instid1(VALU_DEP_1)
	v_add_nc_u32_e32 v2, v1, v29
	v_add_nc_u32_e32 v3, v2, v30
	s_delay_alu instid0(VALU_DEP_1) | instskip(NEXT) | instid1(VALU_DEP_1)
	v_add_nc_u32_e32 v4, v3, v31
	;; [unrolled: 3-line block ×7, first 2 shown]
	v_add_nc_u32_e32 v15, v14, v18
	s_delay_alu instid0(VALU_DEP_1)
	v_add_nc_u32_e32 v16, v15, v19
	s_load_b128 s[8:11], s[0:1], 0x30
	s_branch .LBB16_72
.LBB16_46:
                                        ; implicit-def: $vgpr1_vgpr2_vgpr3_vgpr4_vgpr5_vgpr6_vgpr7_vgpr8_vgpr9_vgpr10_vgpr11_vgpr12_vgpr13_vgpr14_vgpr15_vgpr16
	s_load_b128 s[8:11], s[0:1], 0x30
	s_cbranch_execz .LBB16_72
; %bb.47:
	s_load_b32 s2, s[0:1], 0x40
	s_waitcnt lgkmcnt(0)
	s_bitcmp0_b32 s2, 0
	s_cbranch_scc1 .LBB16_64
; %bb.48:
	s_add_u32 s2, s4, -4
	s_addc_u32 s3, s5, -1
	s_load_b32 s4, s[8:9], 0x0
	s_load_b32 s2, s[2:3], 0x0
	s_waitcnt lgkmcnt(0)
	s_add_i32 s3, s2, s4
	s_branch .LBB16_65
.LBB16_49:
	global_load_b32 v20, v[17:18], off
	v_dual_mov_b32 v1, s16 :: v_dual_mov_b32 v2, s17
	v_dual_mov_b32 v3, s18 :: v_dual_mov_b32 v4, s19
	;; [unrolled: 1-line block ×8, first 2 shown]
                                        ; kill: def $vgpr1 killed $vgpr20 killed $exec
	s_or_b32 exec_lo, exec_lo, s3
	s_delay_alu instid0(SALU_CYCLE_1)
	s_mov_b32 s2, exec_lo
	v_cmpx_gt_u32_e64 s14, v47
	s_cbranch_execz .LBB16_5
.LBB16_50:
	global_load_b32 v2, v[17:18], off offset:256
	s_or_b32 exec_lo, exec_lo, s2
	s_delay_alu instid0(SALU_CYCLE_1)
	s_mov_b32 s2, exec_lo
	v_cmpx_gt_u32_e64 s14, v46
	s_cbranch_execz .LBB16_6
.LBB16_51:
	global_load_b32 v3, v[17:18], off offset:512
	s_or_b32 exec_lo, exec_lo, s2
	s_delay_alu instid0(SALU_CYCLE_1)
	s_mov_b32 s2, exec_lo
	v_cmpx_gt_u32_e64 s14, v45
	s_cbranch_execz .LBB16_7
.LBB16_52:
	global_load_b32 v4, v[17:18], off offset:768
	s_or_b32 exec_lo, exec_lo, s2
	s_delay_alu instid0(SALU_CYCLE_1)
	s_mov_b32 s2, exec_lo
	v_cmpx_gt_u32_e64 s14, v44
	s_cbranch_execz .LBB16_8
.LBB16_53:
	global_load_b32 v5, v[17:18], off offset:1024
	s_or_b32 exec_lo, exec_lo, s2
	s_delay_alu instid0(SALU_CYCLE_1)
	s_mov_b32 s2, exec_lo
	v_cmpx_gt_u32_e64 s14, v43
	s_cbranch_execz .LBB16_9
.LBB16_54:
	global_load_b32 v6, v[17:18], off offset:1280
	s_or_b32 exec_lo, exec_lo, s2
	s_delay_alu instid0(SALU_CYCLE_1)
	s_mov_b32 s2, exec_lo
	v_cmpx_gt_u32_e64 s14, v42
	s_cbranch_execz .LBB16_10
.LBB16_55:
	global_load_b32 v7, v[17:18], off offset:1536
	s_or_b32 exec_lo, exec_lo, s2
	s_delay_alu instid0(SALU_CYCLE_1)
	s_mov_b32 s2, exec_lo
	v_cmpx_gt_u32_e64 s14, v41
	s_cbranch_execz .LBB16_11
.LBB16_56:
	global_load_b32 v8, v[17:18], off offset:1792
	s_or_b32 exec_lo, exec_lo, s2
	s_delay_alu instid0(SALU_CYCLE_1)
	s_mov_b32 s2, exec_lo
	v_cmpx_gt_u32_e64 s14, v40
	s_cbranch_execz .LBB16_12
.LBB16_57:
	global_load_b32 v9, v[17:18], off offset:2048
	s_or_b32 exec_lo, exec_lo, s2
	s_delay_alu instid0(SALU_CYCLE_1)
	s_mov_b32 s2, exec_lo
	v_cmpx_gt_u32_e64 s14, v39
	s_cbranch_execz .LBB16_13
.LBB16_58:
	global_load_b32 v10, v[17:18], off offset:2304
	s_or_b32 exec_lo, exec_lo, s2
	s_delay_alu instid0(SALU_CYCLE_1)
	s_mov_b32 s2, exec_lo
	v_cmpx_gt_u32_e64 s14, v38
	s_cbranch_execz .LBB16_14
.LBB16_59:
	global_load_b32 v11, v[17:18], off offset:2560
	s_or_b32 exec_lo, exec_lo, s2
	s_delay_alu instid0(SALU_CYCLE_1)
	s_mov_b32 s2, exec_lo
	v_cmpx_gt_u32_e64 s14, v37
	s_cbranch_execz .LBB16_15
.LBB16_60:
	global_load_b32 v12, v[17:18], off offset:2816
	s_or_b32 exec_lo, exec_lo, s2
	s_delay_alu instid0(SALU_CYCLE_1)
	s_mov_b32 s2, exec_lo
	v_cmpx_gt_u32_e64 s14, v36
	s_cbranch_execz .LBB16_16
.LBB16_61:
	global_load_b32 v13, v[17:18], off offset:3072
	s_or_b32 exec_lo, exec_lo, s2
	s_delay_alu instid0(SALU_CYCLE_1)
	s_mov_b32 s2, exec_lo
	v_cmpx_gt_u32_e64 s14, v35
	s_cbranch_execz .LBB16_17
.LBB16_62:
	global_load_b32 v14, v[17:18], off offset:3328
	s_or_b32 exec_lo, exec_lo, s2
	s_delay_alu instid0(SALU_CYCLE_1)
	s_mov_b32 s2, exec_lo
	v_cmpx_gt_u32_e64 s14, v34
	s_cbranch_execz .LBB16_18
.LBB16_63:
	global_load_b32 v15, v[17:18], off offset:3584
	s_or_b32 exec_lo, exec_lo, s2
	s_delay_alu instid0(SALU_CYCLE_1)
	s_mov_b32 s2, exec_lo
	v_cmpx_gt_u32_e64 s14, v33
	s_cbranch_execnz .LBB16_19
	s_branch .LBB16_20
.LBB16_64:
	s_load_b32 s3, s[0:1], 0x18
.LBB16_65:
	v_add3_u32 v1, v51, v27, v28
	v_add_lshl_u32 v2, v49, v0, 2
	s_mov_b32 s2, exec_lo
	s_delay_alu instid0(VALU_DEP_2) | instskip(NEXT) | instid1(VALU_DEP_1)
	v_add3_u32 v1, v1, v25, v26
	v_add3_u32 v1, v1, v23, v24
	s_delay_alu instid0(VALU_DEP_1) | instskip(NEXT) | instid1(VALU_DEP_1)
	v_add3_u32 v1, v1, v21, v22
	v_add3_u32 v1, v1, v17, v18
	s_delay_alu instid0(VALU_DEP_1)
	v_add3_u32 v1, v1, v19, v20
	ds_store_b32 v2, v1
	s_waitcnt lgkmcnt(0)
	s_barrier
	buffer_gl0_inv
	v_cmpx_gt_u32_e32 32, v0
	s_cbranch_execz .LBB16_67
; %bb.66:
	v_lshrrev_b32_e32 v2, 2, v0
	v_mbcnt_lo_u32_b32 v5, -1, 0
	s_delay_alu instid0(VALU_DEP_2) | instskip(NEXT) | instid1(VALU_DEP_2)
	v_and_b32_e32 v2, 12, v2
	v_add_nc_u32_e32 v9, -1, v5
	s_delay_alu instid0(VALU_DEP_2) | instskip(SKIP_3) | instid1(VALU_DEP_1)
	v_lshl_or_b32 v4, v0, 3, v2
	ds_load_2addr_b32 v[2:3], v4 offset1:1
	s_waitcnt lgkmcnt(0)
	v_add_nc_u32_e32 v6, v3, v2
	v_mov_b32_dpp v8, v6 row_shr:1 row_mask:0xf bank_mask:0xf
	v_and_b32_e32 v7, 15, v5
	s_delay_alu instid0(VALU_DEP_1) | instskip(NEXT) | instid1(VALU_DEP_3)
	v_cmp_ne_u32_e32 vcc_lo, 0, v7
	v_cndmask_b32_e32 v8, 0, v8, vcc_lo
	v_cmp_lt_u32_e32 vcc_lo, 1, v7
	s_delay_alu instid0(VALU_DEP_2) | instskip(NEXT) | instid1(VALU_DEP_1)
	v_add_nc_u32_e32 v6, v8, v6
	v_mov_b32_dpp v8, v6 row_shr:2 row_mask:0xf bank_mask:0xf
	s_delay_alu instid0(VALU_DEP_1) | instskip(SKIP_1) | instid1(VALU_DEP_2)
	v_cndmask_b32_e32 v8, 0, v8, vcc_lo
	v_cmp_lt_u32_e32 vcc_lo, 3, v7
	v_add_nc_u32_e32 v6, v6, v8
	s_delay_alu instid0(VALU_DEP_1) | instskip(NEXT) | instid1(VALU_DEP_1)
	v_mov_b32_dpp v8, v6 row_shr:4 row_mask:0xf bank_mask:0xf
	v_cndmask_b32_e32 v8, 0, v8, vcc_lo
	v_cmp_lt_u32_e32 vcc_lo, 7, v7
	s_delay_alu instid0(VALU_DEP_2) | instskip(NEXT) | instid1(VALU_DEP_1)
	v_add_nc_u32_e32 v6, v6, v8
	v_mov_b32_dpp v8, v6 row_shr:8 row_mask:0xf bank_mask:0xf
	s_delay_alu instid0(VALU_DEP_1) | instskip(SKIP_2) | instid1(VALU_DEP_3)
	v_cndmask_b32_e32 v7, 0, v8, vcc_lo
	v_bfe_i32 v8, v5, 4, 1
	v_cmp_gt_i32_e32 vcc_lo, 0, v9
	v_dual_cndmask_b32 v5, v9, v5 :: v_dual_add_nc_u32 v6, v6, v7
	v_cmp_eq_u32_e32 vcc_lo, 0, v0
	ds_swizzle_b32 v7, v6 offset:swizzle(BROADCAST,32,15)
	v_lshlrev_b32_e32 v5, 2, v5
	s_waitcnt lgkmcnt(0)
	v_and_b32_e32 v7, v8, v7
	s_delay_alu instid0(VALU_DEP_1) | instskip(SKIP_3) | instid1(VALU_DEP_1)
	v_add_nc_u32_e32 v6, v6, v7
	ds_bpermute_b32 v5, v5, v6
	s_waitcnt lgkmcnt(0)
	v_add_nc_u32_e32 v2, v5, v2
	v_cndmask_b32_e32 v1, v2, v1, vcc_lo
	s_delay_alu instid0(VALU_DEP_1)
	v_add_nc_u32_e32 v2, v1, v3
	ds_store_2addr_b32 v4, v1, v2 offset1:1
.LBB16_67:
	s_or_b32 exec_lo, exec_lo, s2
	v_cmp_eq_u32_e32 vcc_lo, 0, v0
	v_mov_b32_e32 v1, s3
	s_mov_b32 s4, exec_lo
	s_waitcnt lgkmcnt(0)
	s_barrier
	buffer_gl0_inv
	v_cmpx_ne_u32_e32 0, v0
	s_cbranch_execz .LBB16_69
; %bb.68:
	v_add_nc_u32_e32 v1, -1, v0
	s_delay_alu instid0(VALU_DEP_1) | instskip(NEXT) | instid1(VALU_DEP_1)
	v_lshrrev_b32_e32 v2, 5, v1
	v_add_lshl_u32 v1, v2, v1, 2
	ds_load_b32 v1, v1
	s_waitcnt lgkmcnt(0)
	v_add_nc_u32_e32 v1, s3, v1
.LBB16_69:
	s_or_b32 exec_lo, exec_lo, s4
	s_delay_alu instid0(VALU_DEP_1) | instskip(NEXT) | instid1(VALU_DEP_1)
	v_add_nc_u32_e32 v2, v1, v29
	v_add_nc_u32_e32 v3, v2, v30
	s_delay_alu instid0(VALU_DEP_1) | instskip(NEXT) | instid1(VALU_DEP_1)
	v_add_nc_u32_e32 v4, v3, v31
	v_add_nc_u32_e32 v5, v4, v32
	;; [unrolled: 3-line block ×7, first 2 shown]
	s_delay_alu instid0(VALU_DEP_1)
	v_add_nc_u32_e32 v16, v15, v19
	s_and_saveexec_b32 s2, vcc_lo
	s_cbranch_execz .LBB16_71
; %bb.70:
	v_dual_mov_b32 v19, 0 :: v_dual_mov_b32 v18, 2
	ds_load_b32 v17, v19 offset:256
	s_waitcnt lgkmcnt(0)
	v_add_nc_u32_e32 v17, s3, v17
	global_store_b64 v19, v[17:18], s[16:17] offset:256
.LBB16_71:
	s_or_b32 exec_lo, exec_lo, s2
.LBB16_72:
	v_lshlrev_b32_e32 v17, 6, v0
	s_add_u32 s2, s6, s12
	s_addc_u32 s3, s7, s13
	s_and_b32 vcc_lo, exec_lo, s34
	s_mov_b32 s4, -1
	s_waitcnt lgkmcnt(0)
	s_waitcnt_vscnt null, 0x0
	s_barrier
	buffer_gl0_inv
	s_cbranch_vccz .LBB16_74
; %bb.73:
	v_lshl_add_u32 v18, v50, 2, v17
	v_lshrrev_b32_e32 v26, 5, v40
	v_lshrrev_b32_e32 v27, 5, v39
	;; [unrolled: 1-line block ×4, first 2 shown]
	ds_store_2addr_b32 v18, v1, v2 offset1:1
	ds_store_2addr_b32 v18, v3, v4 offset0:2 offset1:3
	ds_store_2addr_b32 v18, v5, v6 offset0:4 offset1:5
	;; [unrolled: 1-line block ×7, first 2 shown]
	v_lshrrev_b32_e32 v18, 5, v47
	v_lshrrev_b32_e32 v21, 5, v45
	;; [unrolled: 1-line block ×11, first 2 shown]
	v_add_lshl_u32 v20, v49, v0, 2
	v_add_lshl_u32 v26, v26, v0, 2
	v_add_lshl_u32 v18, v18, v0, 2
	v_add_lshl_u32 v27, v27, v0, 2
	v_add_lshl_u32 v19, v19, v0, 2
	v_add_lshl_u32 v28, v28, v0, 2
	v_add_lshl_u32 v21, v21, v0, 2
	v_add_lshl_u32 v29, v29, v0, 2
	v_add_lshl_u32 v22, v22, v0, 2
	v_add_lshl_u32 v23, v23, v0, 2
	v_add_lshl_u32 v24, v24, v0, 2
	v_add_lshl_u32 v25, v25, v0, 2
	v_add_lshl_u32 v30, v30, v0, 2
	v_add_lshl_u32 v31, v31, v0, 2
	v_add_lshl_u32 v32, v32, v0, 2
	v_add_lshl_u32 v51, v51, v0, 2
	s_waitcnt lgkmcnt(0)
	s_barrier
	buffer_gl0_inv
	ds_load_b32 v20, v20
	ds_load_b32 v18, v18 offset:256
	ds_load_b32 v19, v19 offset:512
	;; [unrolled: 1-line block ×15, first 2 shown]
	s_waitcnt lgkmcnt(15)
	global_store_b32 v48, v20, s[2:3]
	s_waitcnt lgkmcnt(14)
	global_store_b32 v48, v18, s[2:3] offset:256
	s_waitcnt lgkmcnt(13)
	global_store_b32 v48, v19, s[2:3] offset:512
	;; [unrolled: 2-line block ×7, first 2 shown]
	s_mov_b32 s4, 0
	s_waitcnt lgkmcnt(7)
	global_store_b32 v48, v26, s[2:3] offset:2048
	s_waitcnt lgkmcnt(6)
	global_store_b32 v48, v27, s[2:3] offset:2304
	;; [unrolled: 2-line block ×8, first 2 shown]
.LBB16_74:
	s_and_not1_b32 vcc_lo, exec_lo, s4
	s_cbranch_vccnz .LBB16_147
; %bb.75:
	v_lshl_add_u32 v17, v50, 2, v17
	ds_store_2addr_b32 v17, v1, v2 offset1:1
	ds_store_2addr_b32 v17, v3, v4 offset0:2 offset1:3
	ds_store_2addr_b32 v17, v5, v6 offset0:4 offset1:5
	;; [unrolled: 1-line block ×7, first 2 shown]
	v_lshrrev_b32_e32 v1, 5, v47
	v_lshrrev_b32_e32 v2, 5, v46
	;; [unrolled: 1-line block ×6, first 2 shown]
	v_add_lshl_u32 v3, v49, v0, 2
	v_lshrrev_b32_e32 v8, 5, v41
	v_add_lshl_u32 v1, v1, v0, 2
	v_lshrrev_b32_e32 v14, 5, v40
	;; [unrolled: 2-line block ×3, first 2 shown]
	v_lshrrev_b32_e32 v16, 5, v38
	v_add_lshl_u32 v9, v4, v0, 2
	v_add_lshl_u32 v10, v5, v0, 2
	;; [unrolled: 1-line block ×4, first 2 shown]
	s_waitcnt lgkmcnt(0)
	s_waitcnt_vscnt null, 0x0
	s_barrier
	buffer_gl0_inv
	v_add_lshl_u32 v13, v8, v0, 2
	ds_load_b32 v5, v3
	ds_load_b32 v4, v1 offset:256
	ds_load_b32 v6, v2 offset:512
	;; [unrolled: 1-line block ×7, first 2 shown]
	v_lshrrev_b32_e32 v12, 5, v37
	v_add_lshl_u32 v1, v14, v0, 2
	v_lshrrev_b32_e32 v13, 5, v36
	v_lshrrev_b32_e32 v14, 5, v35
	v_add_lshl_u32 v2, v15, v0, 2
	v_add_lshl_u32 v3, v16, v0, 2
	v_lshrrev_b32_e32 v15, 5, v34
	v_lshrrev_b32_e32 v16, 5, v33
	v_add_lshl_u32 v17, v12, v0, 2
	v_add_lshl_u32 v18, v13, v0, 2
	;; [unrolled: 1-line block ×5, first 2 shown]
	ds_load_b32 v12, v1 offset:2048
	ds_load_b32 v13, v2 offset:2304
	;; [unrolled: 1-line block ×8, first 2 shown]
	v_add_co_u32 v2, s2, s2, v48
	v_mov_b32_e32 v1, 0
	v_add_co_ci_u32_e64 v3, null, s3, 0, s2
	s_mov_b32 s2, exec_lo
	v_cmpx_gt_u32_e64 s14, v0
	s_cbranch_execnz .LBB16_148
; %bb.76:
	s_or_b32 exec_lo, exec_lo, s2
	s_delay_alu instid0(SALU_CYCLE_1)
	s_mov_b32 s2, exec_lo
	v_cmpx_gt_u32_e64 s14, v47
	s_cbranch_execnz .LBB16_149
.LBB16_77:
	s_or_b32 exec_lo, exec_lo, s2
	s_delay_alu instid0(SALU_CYCLE_1)
	s_mov_b32 s2, exec_lo
	v_cmpx_gt_u32_e64 s14, v46
	s_cbranch_execnz .LBB16_150
.LBB16_78:
	s_or_b32 exec_lo, exec_lo, s2
	s_delay_alu instid0(SALU_CYCLE_1)
	s_mov_b32 s2, exec_lo
	v_cmpx_gt_u32_e64 s14, v45
	s_cbranch_execnz .LBB16_151
.LBB16_79:
	s_or_b32 exec_lo, exec_lo, s2
	s_delay_alu instid0(SALU_CYCLE_1)
	s_mov_b32 s2, exec_lo
	v_cmpx_gt_u32_e64 s14, v44
	s_cbranch_execnz .LBB16_152
.LBB16_80:
	s_or_b32 exec_lo, exec_lo, s2
	s_delay_alu instid0(SALU_CYCLE_1)
	s_mov_b32 s2, exec_lo
	v_cmpx_gt_u32_e64 s14, v43
	s_cbranch_execnz .LBB16_153
.LBB16_81:
	s_or_b32 exec_lo, exec_lo, s2
	s_delay_alu instid0(SALU_CYCLE_1)
	s_mov_b32 s2, exec_lo
	v_cmpx_gt_u32_e64 s14, v42
	s_cbranch_execnz .LBB16_154
.LBB16_82:
	s_or_b32 exec_lo, exec_lo, s2
	s_delay_alu instid0(SALU_CYCLE_1)
	s_mov_b32 s2, exec_lo
	v_cmpx_gt_u32_e64 s14, v41
	s_cbranch_execnz .LBB16_155
.LBB16_83:
	s_or_b32 exec_lo, exec_lo, s2
	s_delay_alu instid0(SALU_CYCLE_1)
	s_mov_b32 s2, exec_lo
	v_cmpx_gt_u32_e64 s14, v40
	s_cbranch_execnz .LBB16_156
.LBB16_84:
	s_or_b32 exec_lo, exec_lo, s2
	s_delay_alu instid0(SALU_CYCLE_1)
	s_mov_b32 s2, exec_lo
	v_cmpx_gt_u32_e64 s14, v39
	s_cbranch_execnz .LBB16_157
.LBB16_85:
	s_or_b32 exec_lo, exec_lo, s2
	s_delay_alu instid0(SALU_CYCLE_1)
	s_mov_b32 s2, exec_lo
	v_cmpx_gt_u32_e64 s14, v38
	s_cbranch_execnz .LBB16_158
.LBB16_86:
	s_or_b32 exec_lo, exec_lo, s2
	s_delay_alu instid0(SALU_CYCLE_1)
	s_mov_b32 s2, exec_lo
	v_cmpx_gt_u32_e64 s14, v37
	s_cbranch_execnz .LBB16_159
.LBB16_87:
	s_or_b32 exec_lo, exec_lo, s2
	s_delay_alu instid0(SALU_CYCLE_1)
	s_mov_b32 s2, exec_lo
	v_cmpx_gt_u32_e64 s14, v36
	s_cbranch_execnz .LBB16_160
.LBB16_88:
	s_or_b32 exec_lo, exec_lo, s2
	s_delay_alu instid0(SALU_CYCLE_1)
	s_mov_b32 s2, exec_lo
	v_cmpx_gt_u32_e64 s14, v35
	s_cbranch_execnz .LBB16_161
.LBB16_89:
	s_or_b32 exec_lo, exec_lo, s2
	s_delay_alu instid0(SALU_CYCLE_1)
	s_mov_b32 s2, exec_lo
	v_cmpx_gt_u32_e64 s14, v34
	s_cbranch_execnz .LBB16_162
.LBB16_90:
	s_or_b32 exec_lo, exec_lo, s2
	s_delay_alu instid0(SALU_CYCLE_1)
	s_mov_b32 s2, exec_lo
	v_cmpx_gt_u32_e64 s14, v33
	s_cbranch_execz .LBB16_92
.LBB16_91:
	s_waitcnt lgkmcnt(0)
	global_store_b32 v[2:3], v19, off offset:3840
.LBB16_92:
	s_or_b32 exec_lo, exec_lo, s2
	s_load_b32 s0, s[0:1], 0x40
	s_waitcnt lgkmcnt(0)
	s_bfe_u32 s0, s0, 0x10008
	s_delay_alu instid0(SALU_CYCLE_1)
	s_cmp_eq_u32 s0, 0
	s_cbranch_scc1 .LBB16_147
; %bb.93:
	s_add_u32 s0, s14, -1
	s_addc_u32 s1, s33, -1
	s_delay_alu instid0(SALU_CYCLE_1)
	s_lshr_b64 s[2:3], s[0:1], 4
	s_mov_b32 s1, exec_lo
	v_cmpx_eq_u64_e64 s[2:3], v[0:1]
	s_cbranch_execz .LBB16_147
; %bb.94:
	s_and_b32 s0, s0, 15
	s_mov_b32 s1, 0
	s_delay_alu instid0(SALU_CYCLE_1) | instskip(NEXT) | instid1(VALU_DEP_1)
	v_cmp_lt_i64_e64 s2, s[0:1], 8
	s_and_b32 vcc_lo, exec_lo, s2
	s_mov_b32 s2, -1
	s_cbranch_vccnz .LBB16_121
; %bb.95:
	v_cmp_lt_i64_e64 s2, s[0:1], 12
	s_delay_alu instid0(VALU_DEP_1)
	s_and_b32 vcc_lo, exec_lo, s2
	s_mov_b32 s2, -1
	s_cbranch_vccnz .LBB16_108
; %bb.96:
	v_cmp_lt_i64_e64 s2, s[0:1], 14
	s_delay_alu instid0(VALU_DEP_1)
	s_and_b32 vcc_lo, exec_lo, s2
	s_mov_b32 s2, -1
	s_cbranch_vccnz .LBB16_102
; %bb.97:
	v_cmp_gt_i64_e64 s2, s[0:1], 14
	s_delay_alu instid0(VALU_DEP_1)
	s_and_b32 vcc_lo, exec_lo, s2
	s_mov_b32 s2, -1
	s_cbranch_vccz .LBB16_99
; %bb.98:
	v_mov_b32_e32 v0, 0
	s_mov_b32 s2, 0
	global_store_b32 v0, v19, s[10:11]
.LBB16_99:
	s_and_not1_b32 vcc_lo, exec_lo, s2
	s_cbranch_vccnz .LBB16_101
; %bb.100:
	v_mov_b32_e32 v0, 0
	global_store_b32 v0, v18, s[10:11]
.LBB16_101:
	s_mov_b32 s2, 0
.LBB16_102:
	s_delay_alu instid0(SALU_CYCLE_1)
	s_and_not1_b32 vcc_lo, exec_lo, s2
	s_cbranch_vccnz .LBB16_107
; %bb.103:
	v_cmp_gt_i64_e64 s2, s[0:1], 12
	s_delay_alu instid0(VALU_DEP_1)
	s_and_b32 vcc_lo, exec_lo, s2
	s_mov_b32 s2, -1
	s_cbranch_vccz .LBB16_105
; %bb.104:
	v_mov_b32_e32 v0, 0
	s_mov_b32 s2, 0
	global_store_b32 v0, v17, s[10:11]
.LBB16_105:
	s_and_not1_b32 vcc_lo, exec_lo, s2
	s_cbranch_vccnz .LBB16_107
; %bb.106:
	v_mov_b32_e32 v0, 0
	global_store_b32 v0, v16, s[10:11]
.LBB16_107:
	s_mov_b32 s2, 0
.LBB16_108:
	s_delay_alu instid0(SALU_CYCLE_1)
	s_and_not1_b32 vcc_lo, exec_lo, s2
	s_cbranch_vccnz .LBB16_120
; %bb.109:
	v_cmp_lt_i64_e64 s2, s[0:1], 10
	s_delay_alu instid0(VALU_DEP_1)
	s_and_b32 vcc_lo, exec_lo, s2
	s_mov_b32 s2, -1
	s_cbranch_vccnz .LBB16_115
; %bb.110:
	v_cmp_gt_i64_e64 s2, s[0:1], 10
	s_delay_alu instid0(VALU_DEP_1)
	s_and_b32 vcc_lo, exec_lo, s2
	s_mov_b32 s2, -1
	s_cbranch_vccz .LBB16_112
; %bb.111:
	v_mov_b32_e32 v0, 0
	s_mov_b32 s2, 0
	global_store_b32 v0, v15, s[10:11]
.LBB16_112:
	s_and_not1_b32 vcc_lo, exec_lo, s2
	s_cbranch_vccnz .LBB16_114
; %bb.113:
	v_mov_b32_e32 v0, 0
	global_store_b32 v0, v14, s[10:11]
.LBB16_114:
	s_mov_b32 s2, 0
.LBB16_115:
	s_delay_alu instid0(SALU_CYCLE_1)
	s_and_not1_b32 vcc_lo, exec_lo, s2
	s_cbranch_vccnz .LBB16_120
; %bb.116:
	v_cmp_gt_i64_e64 s2, s[0:1], 8
	s_delay_alu instid0(VALU_DEP_1)
	s_and_b32 vcc_lo, exec_lo, s2
	s_mov_b32 s2, -1
	s_cbranch_vccz .LBB16_118
; %bb.117:
	v_mov_b32_e32 v0, 0
	s_mov_b32 s2, 0
	global_store_b32 v0, v13, s[10:11]
.LBB16_118:
	s_and_not1_b32 vcc_lo, exec_lo, s2
	s_cbranch_vccnz .LBB16_120
; %bb.119:
	v_mov_b32_e32 v0, 0
	global_store_b32 v0, v12, s[10:11]
.LBB16_120:
	s_mov_b32 s2, 0
.LBB16_121:
	s_delay_alu instid0(SALU_CYCLE_1)
	s_and_not1_b32 vcc_lo, exec_lo, s2
	s_cbranch_vccnz .LBB16_147
; %bb.122:
	v_cmp_lt_i64_e64 s2, s[0:1], 4
	s_delay_alu instid0(VALU_DEP_1)
	s_and_b32 vcc_lo, exec_lo, s2
	s_mov_b32 s2, -1
	s_cbranch_vccnz .LBB16_135
; %bb.123:
	v_cmp_lt_i64_e64 s2, s[0:1], 6
	s_delay_alu instid0(VALU_DEP_1)
	s_and_b32 vcc_lo, exec_lo, s2
	s_mov_b32 s2, -1
	s_cbranch_vccnz .LBB16_129
; %bb.124:
	v_cmp_gt_i64_e64 s2, s[0:1], 6
	s_delay_alu instid0(VALU_DEP_1)
	s_and_b32 vcc_lo, exec_lo, s2
	s_mov_b32 s2, -1
	s_cbranch_vccz .LBB16_126
; %bb.125:
	v_mov_b32_e32 v0, 0
	s_mov_b32 s2, 0
	global_store_b32 v0, v11, s[10:11]
.LBB16_126:
	s_and_not1_b32 vcc_lo, exec_lo, s2
	s_cbranch_vccnz .LBB16_128
; %bb.127:
	v_mov_b32_e32 v0, 0
	global_store_b32 v0, v10, s[10:11]
.LBB16_128:
	s_mov_b32 s2, 0
.LBB16_129:
	s_delay_alu instid0(SALU_CYCLE_1)
	s_and_not1_b32 vcc_lo, exec_lo, s2
	s_cbranch_vccnz .LBB16_134
; %bb.130:
	v_cmp_gt_i64_e64 s2, s[0:1], 4
	s_delay_alu instid0(VALU_DEP_1)
	s_and_b32 vcc_lo, exec_lo, s2
	s_mov_b32 s2, -1
	s_cbranch_vccz .LBB16_132
; %bb.131:
	v_mov_b32_e32 v0, 0
	s_mov_b32 s2, 0
	global_store_b32 v0, v9, s[10:11]
.LBB16_132:
	s_and_not1_b32 vcc_lo, exec_lo, s2
	s_cbranch_vccnz .LBB16_134
; %bb.133:
	v_mov_b32_e32 v0, 0
	global_store_b32 v0, v8, s[10:11]
.LBB16_134:
	s_mov_b32 s2, 0
.LBB16_135:
	s_delay_alu instid0(SALU_CYCLE_1)
	s_and_not1_b32 vcc_lo, exec_lo, s2
	s_cbranch_vccnz .LBB16_147
; %bb.136:
	v_cmp_lt_i64_e64 s2, s[0:1], 2
	s_delay_alu instid0(VALU_DEP_1)
	s_and_b32 vcc_lo, exec_lo, s2
	s_mov_b32 s2, -1
	s_cbranch_vccnz .LBB16_142
; %bb.137:
	v_cmp_gt_i64_e64 s2, s[0:1], 2
	s_delay_alu instid0(VALU_DEP_1)
	s_and_b32 vcc_lo, exec_lo, s2
	s_mov_b32 s2, -1
	s_cbranch_vccz .LBB16_139
; %bb.138:
	v_mov_b32_e32 v0, 0
	s_mov_b32 s2, 0
	global_store_b32 v0, v7, s[10:11]
.LBB16_139:
	s_and_not1_b32 vcc_lo, exec_lo, s2
	s_cbranch_vccnz .LBB16_141
; %bb.140:
	v_mov_b32_e32 v0, 0
	global_store_b32 v0, v6, s[10:11]
.LBB16_141:
	s_mov_b32 s2, 0
.LBB16_142:
	s_delay_alu instid0(SALU_CYCLE_1)
	s_and_not1_b32 vcc_lo, exec_lo, s2
	s_cbranch_vccnz .LBB16_147
; %bb.143:
	s_cmp_eq_u64 s[0:1], 1
	s_mov_b32 s0, -1
	s_cbranch_scc1 .LBB16_145
; %bb.144:
	v_mov_b32_e32 v0, 0
	s_mov_b32 s0, 0
	global_store_b32 v0, v5, s[10:11]
.LBB16_145:
	s_and_not1_b32 vcc_lo, exec_lo, s0
	s_cbranch_vccnz .LBB16_147
; %bb.146:
	v_mov_b32_e32 v0, 0
	global_store_b32 v0, v4, s[10:11]
.LBB16_147:
	s_nop 0
	s_sendmsg sendmsg(MSG_DEALLOC_VGPRS)
	s_endpgm
.LBB16_148:
	s_waitcnt lgkmcnt(15)
	global_store_b32 v[2:3], v5, off
	s_or_b32 exec_lo, exec_lo, s2
	s_delay_alu instid0(SALU_CYCLE_1)
	s_mov_b32 s2, exec_lo
	v_cmpx_gt_u32_e64 s14, v47
	s_cbranch_execz .LBB16_77
.LBB16_149:
	s_waitcnt lgkmcnt(14)
	global_store_b32 v[2:3], v4, off offset:256
	s_or_b32 exec_lo, exec_lo, s2
	s_delay_alu instid0(SALU_CYCLE_1)
	s_mov_b32 s2, exec_lo
	v_cmpx_gt_u32_e64 s14, v46
	s_cbranch_execz .LBB16_78
.LBB16_150:
	s_waitcnt lgkmcnt(13)
	global_store_b32 v[2:3], v6, off offset:512
	s_or_b32 exec_lo, exec_lo, s2
	s_delay_alu instid0(SALU_CYCLE_1)
	s_mov_b32 s2, exec_lo
	v_cmpx_gt_u32_e64 s14, v45
	s_cbranch_execz .LBB16_79
.LBB16_151:
	s_waitcnt lgkmcnt(12)
	global_store_b32 v[2:3], v7, off offset:768
	s_or_b32 exec_lo, exec_lo, s2
	s_delay_alu instid0(SALU_CYCLE_1)
	s_mov_b32 s2, exec_lo
	v_cmpx_gt_u32_e64 s14, v44
	s_cbranch_execz .LBB16_80
.LBB16_152:
	s_waitcnt lgkmcnt(11)
	global_store_b32 v[2:3], v8, off offset:1024
	s_or_b32 exec_lo, exec_lo, s2
	s_delay_alu instid0(SALU_CYCLE_1)
	s_mov_b32 s2, exec_lo
	v_cmpx_gt_u32_e64 s14, v43
	s_cbranch_execz .LBB16_81
.LBB16_153:
	s_waitcnt lgkmcnt(10)
	global_store_b32 v[2:3], v9, off offset:1280
	s_or_b32 exec_lo, exec_lo, s2
	s_delay_alu instid0(SALU_CYCLE_1)
	s_mov_b32 s2, exec_lo
	v_cmpx_gt_u32_e64 s14, v42
	s_cbranch_execz .LBB16_82
.LBB16_154:
	s_waitcnt lgkmcnt(9)
	global_store_b32 v[2:3], v10, off offset:1536
	s_or_b32 exec_lo, exec_lo, s2
	s_delay_alu instid0(SALU_CYCLE_1)
	s_mov_b32 s2, exec_lo
	v_cmpx_gt_u32_e64 s14, v41
	s_cbranch_execz .LBB16_83
.LBB16_155:
	s_waitcnt lgkmcnt(8)
	global_store_b32 v[2:3], v11, off offset:1792
	s_or_b32 exec_lo, exec_lo, s2
	s_delay_alu instid0(SALU_CYCLE_1)
	s_mov_b32 s2, exec_lo
	v_cmpx_gt_u32_e64 s14, v40
	s_cbranch_execz .LBB16_84
.LBB16_156:
	s_waitcnt lgkmcnt(7)
	global_store_b32 v[2:3], v12, off offset:2048
	s_or_b32 exec_lo, exec_lo, s2
	s_delay_alu instid0(SALU_CYCLE_1)
	s_mov_b32 s2, exec_lo
	v_cmpx_gt_u32_e64 s14, v39
	s_cbranch_execz .LBB16_85
.LBB16_157:
	s_waitcnt lgkmcnt(6)
	global_store_b32 v[2:3], v13, off offset:2304
	s_or_b32 exec_lo, exec_lo, s2
	s_delay_alu instid0(SALU_CYCLE_1)
	s_mov_b32 s2, exec_lo
	v_cmpx_gt_u32_e64 s14, v38
	s_cbranch_execz .LBB16_86
.LBB16_158:
	s_waitcnt lgkmcnt(5)
	global_store_b32 v[2:3], v14, off offset:2560
	s_or_b32 exec_lo, exec_lo, s2
	s_delay_alu instid0(SALU_CYCLE_1)
	s_mov_b32 s2, exec_lo
	v_cmpx_gt_u32_e64 s14, v37
	s_cbranch_execz .LBB16_87
.LBB16_159:
	s_waitcnt lgkmcnt(4)
	global_store_b32 v[2:3], v15, off offset:2816
	s_or_b32 exec_lo, exec_lo, s2
	s_delay_alu instid0(SALU_CYCLE_1)
	s_mov_b32 s2, exec_lo
	v_cmpx_gt_u32_e64 s14, v36
	s_cbranch_execz .LBB16_88
.LBB16_160:
	s_waitcnt lgkmcnt(3)
	global_store_b32 v[2:3], v16, off offset:3072
	s_or_b32 exec_lo, exec_lo, s2
	s_delay_alu instid0(SALU_CYCLE_1)
	s_mov_b32 s2, exec_lo
	v_cmpx_gt_u32_e64 s14, v35
	s_cbranch_execz .LBB16_89
.LBB16_161:
	s_waitcnt lgkmcnt(2)
	global_store_b32 v[2:3], v17, off offset:3328
	s_or_b32 exec_lo, exec_lo, s2
	s_delay_alu instid0(SALU_CYCLE_1)
	s_mov_b32 s2, exec_lo
	v_cmpx_gt_u32_e64 s14, v34
	s_cbranch_execz .LBB16_90
.LBB16_162:
	s_waitcnt lgkmcnt(1)
	global_store_b32 v[2:3], v18, off offset:3584
	s_or_b32 exec_lo, exec_lo, s2
	s_delay_alu instid0(SALU_CYCLE_1)
	s_mov_b32 s2, exec_lo
	v_cmpx_gt_u32_e64 s14, v33
	s_cbranch_execnz .LBB16_91
	s_branch .LBB16_92
	.section	.rodata,"a",@progbits
	.p2align	6, 0x0
	.amdhsa_kernel _ZN7rocprim17ROCPRIM_304000_NS6detail20lookback_scan_kernelILNS1_25lookback_scan_determinismE0ELb1ENS1_19wrapped_scan_configINS0_14default_configEiEEPKiPiN2at4cuda3cub12_GLOBAL__N_15SumOpIiEEiiNS1_19lookback_scan_stateIiLb0ELb1EEEEEvT2_T3_mT5_T4_T7_jPT6_SO_bb
		.amdhsa_group_segment_fixed_size 4224
		.amdhsa_private_segment_fixed_size 0
		.amdhsa_kernarg_size 68
		.amdhsa_user_sgpr_count 15
		.amdhsa_user_sgpr_dispatch_ptr 0
		.amdhsa_user_sgpr_queue_ptr 0
		.amdhsa_user_sgpr_kernarg_segment_ptr 1
		.amdhsa_user_sgpr_dispatch_id 0
		.amdhsa_user_sgpr_private_segment_size 0
		.amdhsa_wavefront_size32 1
		.amdhsa_uses_dynamic_stack 0
		.amdhsa_enable_private_segment 0
		.amdhsa_system_sgpr_workgroup_id_x 1
		.amdhsa_system_sgpr_workgroup_id_y 0
		.amdhsa_system_sgpr_workgroup_id_z 0
		.amdhsa_system_sgpr_workgroup_info 0
		.amdhsa_system_vgpr_workitem_id 0
		.amdhsa_next_free_vgpr 57
		.amdhsa_next_free_sgpr 35
		.amdhsa_reserve_vcc 1
		.amdhsa_float_round_mode_32 0
		.amdhsa_float_round_mode_16_64 0
		.amdhsa_float_denorm_mode_32 3
		.amdhsa_float_denorm_mode_16_64 3
		.amdhsa_dx10_clamp 1
		.amdhsa_ieee_mode 1
		.amdhsa_fp16_overflow 0
		.amdhsa_workgroup_processor_mode 1
		.amdhsa_memory_ordered 1
		.amdhsa_forward_progress 0
		.amdhsa_shared_vgpr_count 0
		.amdhsa_exception_fp_ieee_invalid_op 0
		.amdhsa_exception_fp_denorm_src 0
		.amdhsa_exception_fp_ieee_div_zero 0
		.amdhsa_exception_fp_ieee_overflow 0
		.amdhsa_exception_fp_ieee_underflow 0
		.amdhsa_exception_fp_ieee_inexact 0
		.amdhsa_exception_int_div_zero 0
	.end_amdhsa_kernel
	.section	.text._ZN7rocprim17ROCPRIM_304000_NS6detail20lookback_scan_kernelILNS1_25lookback_scan_determinismE0ELb1ENS1_19wrapped_scan_configINS0_14default_configEiEEPKiPiN2at4cuda3cub12_GLOBAL__N_15SumOpIiEEiiNS1_19lookback_scan_stateIiLb0ELb1EEEEEvT2_T3_mT5_T4_T7_jPT6_SO_bb,"axG",@progbits,_ZN7rocprim17ROCPRIM_304000_NS6detail20lookback_scan_kernelILNS1_25lookback_scan_determinismE0ELb1ENS1_19wrapped_scan_configINS0_14default_configEiEEPKiPiN2at4cuda3cub12_GLOBAL__N_15SumOpIiEEiiNS1_19lookback_scan_stateIiLb0ELb1EEEEEvT2_T3_mT5_T4_T7_jPT6_SO_bb,comdat
.Lfunc_end16:
	.size	_ZN7rocprim17ROCPRIM_304000_NS6detail20lookback_scan_kernelILNS1_25lookback_scan_determinismE0ELb1ENS1_19wrapped_scan_configINS0_14default_configEiEEPKiPiN2at4cuda3cub12_GLOBAL__N_15SumOpIiEEiiNS1_19lookback_scan_stateIiLb0ELb1EEEEEvT2_T3_mT5_T4_T7_jPT6_SO_bb, .Lfunc_end16-_ZN7rocprim17ROCPRIM_304000_NS6detail20lookback_scan_kernelILNS1_25lookback_scan_determinismE0ELb1ENS1_19wrapped_scan_configINS0_14default_configEiEEPKiPiN2at4cuda3cub12_GLOBAL__N_15SumOpIiEEiiNS1_19lookback_scan_stateIiLb0ELb1EEEEEvT2_T3_mT5_T4_T7_jPT6_SO_bb
                                        ; -- End function
	.section	.AMDGPU.csdata,"",@progbits
; Kernel info:
; codeLenInByte = 7444
; NumSgprs: 37
; NumVgprs: 57
; ScratchSize: 0
; MemoryBound: 0
; FloatMode: 240
; IeeeMode: 1
; LDSByteSize: 4224 bytes/workgroup (compile time only)
; SGPRBlocks: 4
; VGPRBlocks: 7
; NumSGPRsForWavesPerEU: 37
; NumVGPRsForWavesPerEU: 57
; Occupancy: 16
; WaveLimiterHint : 1
; COMPUTE_PGM_RSRC2:SCRATCH_EN: 0
; COMPUTE_PGM_RSRC2:USER_SGPR: 15
; COMPUTE_PGM_RSRC2:TRAP_HANDLER: 0
; COMPUTE_PGM_RSRC2:TGID_X_EN: 1
; COMPUTE_PGM_RSRC2:TGID_Y_EN: 0
; COMPUTE_PGM_RSRC2:TGID_Z_EN: 0
; COMPUTE_PGM_RSRC2:TIDIG_COMP_CNT: 0
	.section	.text._ZN7rocprim17ROCPRIM_304000_NS6detail18single_scan_kernelILb1ENS1_19wrapped_scan_configINS0_14default_configEiEEPKiPiN2at4cuda3cub12_GLOBAL__N_15SumOpIiEEiiEEvT1_mT4_T2_T3_,"axG",@progbits,_ZN7rocprim17ROCPRIM_304000_NS6detail18single_scan_kernelILb1ENS1_19wrapped_scan_configINS0_14default_configEiEEPKiPiN2at4cuda3cub12_GLOBAL__N_15SumOpIiEEiiEEvT1_mT4_T2_T3_,comdat
	.globl	_ZN7rocprim17ROCPRIM_304000_NS6detail18single_scan_kernelILb1ENS1_19wrapped_scan_configINS0_14default_configEiEEPKiPiN2at4cuda3cub12_GLOBAL__N_15SumOpIiEEiiEEvT1_mT4_T2_T3_ ; -- Begin function _ZN7rocprim17ROCPRIM_304000_NS6detail18single_scan_kernelILb1ENS1_19wrapped_scan_configINS0_14default_configEiEEPKiPiN2at4cuda3cub12_GLOBAL__N_15SumOpIiEEiiEEvT1_mT4_T2_T3_
	.p2align	8
	.type	_ZN7rocprim17ROCPRIM_304000_NS6detail18single_scan_kernelILb1ENS1_19wrapped_scan_configINS0_14default_configEiEEPKiPiN2at4cuda3cub12_GLOBAL__N_15SumOpIiEEiiEEvT1_mT4_T2_T3_,@function
_ZN7rocprim17ROCPRIM_304000_NS6detail18single_scan_kernelILb1ENS1_19wrapped_scan_configINS0_14default_configEiEEPKiPiN2at4cuda3cub12_GLOBAL__N_15SumOpIiEEiiEEvT1_mT4_T2_T3_: ; @_ZN7rocprim17ROCPRIM_304000_NS6detail18single_scan_kernelILb1ENS1_19wrapped_scan_configINS0_14default_configEiEEPKiPiN2at4cuda3cub12_GLOBAL__N_15SumOpIiEEiiEEvT1_mT4_T2_T3_
; %bb.0:
	s_load_b128 s[20:23], s[0:1], 0x0
	s_waitcnt lgkmcnt(0)
	s_load_b32 s4, s[20:21], 0x0
	v_cmp_gt_u32_e32 vcc_lo, s22, v0
	s_waitcnt lgkmcnt(0)
	s_mov_b32 s5, s4
	s_mov_b32 s6, s4
	;; [unrolled: 1-line block ×15, first 2 shown]
	v_lshlrev_b32_e32 v19, 2, v0
	v_dual_mov_b32 v1, s4 :: v_dual_mov_b32 v4, s7
	v_dual_mov_b32 v2, s5 :: v_dual_mov_b32 v3, s6
	v_mov_b32_e32 v6, s9
	s_delay_alu instid0(VALU_DEP_4) | instskip(NEXT) | instid1(VALU_DEP_1)
	v_add_co_u32 v17, s2, s20, v19
	v_add_co_ci_u32_e64 v18, null, s21, 0, s2
	v_dual_mov_b32 v5, s8 :: v_dual_mov_b32 v8, s11
	v_dual_mov_b32 v7, s10 :: v_dual_mov_b32 v10, s13
	;; [unrolled: 1-line block ×6, first 2 shown]
	s_and_saveexec_b32 s2, vcc_lo
	s_cbranch_execz .LBB17_2
; %bb.1:
	global_load_b32 v20, v[17:18], off
	v_dual_mov_b32 v1, s4 :: v_dual_mov_b32 v2, s5
	v_dual_mov_b32 v3, s6 :: v_dual_mov_b32 v4, s7
	v_dual_mov_b32 v5, s8 :: v_dual_mov_b32 v6, s9
	v_dual_mov_b32 v7, s10 :: v_dual_mov_b32 v8, s11
	v_dual_mov_b32 v9, s12 :: v_dual_mov_b32 v10, s13
	v_dual_mov_b32 v11, s14 :: v_dual_mov_b32 v12, s15
	v_dual_mov_b32 v13, s16 :: v_dual_mov_b32 v14, s17
	v_dual_mov_b32 v15, s18 :: v_dual_mov_b32 v16, s19
                                        ; kill: def $vgpr1 killed $vgpr20 killed $exec
.LBB17_2:
	s_or_b32 exec_lo, exec_lo, s2
	v_or_b32_e32 v1, 64, v0
	s_delay_alu instid0(VALU_DEP_1) | instskip(NEXT) | instid1(VALU_DEP_1)
	v_cmp_gt_u32_e64 s2, s22, v1
	s_and_saveexec_b32 s3, s2
	s_cbranch_execz .LBB17_4
; %bb.3:
	global_load_b32 v2, v[17:18], off offset:256
.LBB17_4:
	s_or_b32 exec_lo, exec_lo, s3
	v_or_b32_e32 v21, 0x80, v0
	s_delay_alu instid0(VALU_DEP_1) | instskip(NEXT) | instid1(VALU_DEP_1)
	v_cmp_gt_u32_e64 s3, s22, v21
	s_and_saveexec_b32 s4, s3
	s_cbranch_execz .LBB17_6
; %bb.5:
	global_load_b32 v3, v[17:18], off offset:512
.LBB17_6:
	s_or_b32 exec_lo, exec_lo, s4
	v_or_b32_e32 v22, 0xc0, v0
	s_delay_alu instid0(VALU_DEP_1) | instskip(NEXT) | instid1(VALU_DEP_1)
	v_cmp_gt_u32_e64 s4, s22, v22
	s_and_saveexec_b32 s5, s4
	s_cbranch_execz .LBB17_8
; %bb.7:
	global_load_b32 v4, v[17:18], off offset:768
.LBB17_8:
	s_or_b32 exec_lo, exec_lo, s5
	v_or_b32_e32 v23, 0x100, v0
	s_delay_alu instid0(VALU_DEP_1) | instskip(NEXT) | instid1(VALU_DEP_1)
	v_cmp_gt_u32_e64 s5, s22, v23
	s_and_saveexec_b32 s6, s5
	s_cbranch_execz .LBB17_10
; %bb.9:
	global_load_b32 v5, v[17:18], off offset:1024
.LBB17_10:
	s_or_b32 exec_lo, exec_lo, s6
	v_or_b32_e32 v24, 0x140, v0
	s_delay_alu instid0(VALU_DEP_1) | instskip(NEXT) | instid1(VALU_DEP_1)
	v_cmp_gt_u32_e64 s6, s22, v24
	s_and_saveexec_b32 s7, s6
	s_cbranch_execz .LBB17_12
; %bb.11:
	global_load_b32 v6, v[17:18], off offset:1280
.LBB17_12:
	s_or_b32 exec_lo, exec_lo, s7
	v_or_b32_e32 v25, 0x180, v0
	s_delay_alu instid0(VALU_DEP_1) | instskip(NEXT) | instid1(VALU_DEP_1)
	v_cmp_gt_u32_e64 s7, s22, v25
	s_and_saveexec_b32 s8, s7
	s_cbranch_execz .LBB17_14
; %bb.13:
	global_load_b32 v7, v[17:18], off offset:1536
.LBB17_14:
	s_or_b32 exec_lo, exec_lo, s8
	v_or_b32_e32 v26, 0x1c0, v0
	s_delay_alu instid0(VALU_DEP_1) | instskip(NEXT) | instid1(VALU_DEP_1)
	v_cmp_gt_u32_e64 s8, s22, v26
	s_and_saveexec_b32 s9, s8
	s_cbranch_execz .LBB17_16
; %bb.15:
	global_load_b32 v8, v[17:18], off offset:1792
.LBB17_16:
	s_or_b32 exec_lo, exec_lo, s9
	v_or_b32_e32 v27, 0x200, v0
	s_delay_alu instid0(VALU_DEP_1) | instskip(NEXT) | instid1(VALU_DEP_1)
	v_cmp_gt_u32_e64 s9, s22, v27
	s_and_saveexec_b32 s10, s9
	s_cbranch_execz .LBB17_18
; %bb.17:
	global_load_b32 v9, v[17:18], off offset:2048
.LBB17_18:
	s_or_b32 exec_lo, exec_lo, s10
	v_or_b32_e32 v28, 0x240, v0
	s_delay_alu instid0(VALU_DEP_1) | instskip(NEXT) | instid1(VALU_DEP_1)
	v_cmp_gt_u32_e64 s10, s22, v28
	s_and_saveexec_b32 s11, s10
	s_cbranch_execz .LBB17_20
; %bb.19:
	global_load_b32 v10, v[17:18], off offset:2304
.LBB17_20:
	s_or_b32 exec_lo, exec_lo, s11
	v_or_b32_e32 v29, 0x280, v0
	s_delay_alu instid0(VALU_DEP_1) | instskip(NEXT) | instid1(VALU_DEP_1)
	v_cmp_gt_u32_e64 s11, s22, v29
	s_and_saveexec_b32 s12, s11
	s_cbranch_execz .LBB17_22
; %bb.21:
	global_load_b32 v11, v[17:18], off offset:2560
.LBB17_22:
	s_or_b32 exec_lo, exec_lo, s12
	v_or_b32_e32 v30, 0x2c0, v0
	s_delay_alu instid0(VALU_DEP_1) | instskip(NEXT) | instid1(VALU_DEP_1)
	v_cmp_gt_u32_e64 s12, s22, v30
	s_and_saveexec_b32 s13, s12
	s_cbranch_execz .LBB17_24
; %bb.23:
	global_load_b32 v12, v[17:18], off offset:2816
.LBB17_24:
	s_or_b32 exec_lo, exec_lo, s13
	v_or_b32_e32 v31, 0x300, v0
	s_delay_alu instid0(VALU_DEP_1) | instskip(NEXT) | instid1(VALU_DEP_1)
	v_cmp_gt_u32_e64 s13, s22, v31
	s_and_saveexec_b32 s14, s13
	s_cbranch_execz .LBB17_26
; %bb.25:
	global_load_b32 v13, v[17:18], off offset:3072
.LBB17_26:
	s_or_b32 exec_lo, exec_lo, s14
	v_or_b32_e32 v32, 0x340, v0
	s_delay_alu instid0(VALU_DEP_1) | instskip(NEXT) | instid1(VALU_DEP_1)
	v_cmp_gt_u32_e64 s14, s22, v32
	s_and_saveexec_b32 s15, s14
	s_cbranch_execz .LBB17_28
; %bb.27:
	global_load_b32 v14, v[17:18], off offset:3328
.LBB17_28:
	s_or_b32 exec_lo, exec_lo, s15
	v_or_b32_e32 v33, 0x380, v0
	s_delay_alu instid0(VALU_DEP_1) | instskip(NEXT) | instid1(VALU_DEP_1)
	v_cmp_gt_u32_e64 s15, s22, v33
	s_and_saveexec_b32 s16, s15
	s_cbranch_execz .LBB17_30
; %bb.29:
	global_load_b32 v15, v[17:18], off offset:3584
.LBB17_30:
	s_or_b32 exec_lo, exec_lo, s16
	v_or_b32_e32 v34, 0x3c0, v0
	s_delay_alu instid0(VALU_DEP_1) | instskip(NEXT) | instid1(VALU_DEP_1)
	v_cmp_gt_u32_e64 s16, s22, v34
	s_and_saveexec_b32 s17, s16
	s_cbranch_execz .LBB17_32
; %bb.31:
	global_load_b32 v16, v[17:18], off offset:3840
.LBB17_32:
	s_or_b32 exec_lo, exec_lo, s17
	v_lshrrev_b32_e32 v17, 3, v0
	v_lshrrev_b32_e32 v1, 3, v1
	;; [unrolled: 1-line block ×5, first 2 shown]
	v_and_b32_e32 v17, 4, v17
	v_and_b32_e32 v1, 12, v1
	v_lshrrev_b32_e32 v23, 3, v24
	v_and_b32_e32 v24, 28, v18
	v_and_b32_e32 v22, 60, v22
	v_add_nc_u32_e32 v17, v17, v19
	v_add_nc_u32_e32 v18, v1, v19
	v_and_b32_e32 v1, 28, v21
	v_add_nc_u32_e32 v21, v24, v19
	v_add_nc_u32_e32 v22, v22, v19
	s_waitcnt vmcnt(0)
	ds_store_b32 v17, v20
	ds_store_b32 v18, v2 offset:256
	v_and_b32_e32 v2, 60, v23
	v_add_nc_u32_e32 v20, v1, v19
	v_lshrrev_b32_e32 v1, 3, v25
	ds_store_b32 v21, v3 offset:512
	v_lshrrev_b32_e32 v3, 3, v27
	v_add_nc_u32_e32 v23, v2, v19
	v_lshrrev_b32_e32 v2, 3, v26
	v_and_b32_e32 v1, 60, v1
	ds_store_b32 v20, v4 offset:768
	ds_store_b32 v22, v5 offset:1024
	v_and_b32_e32 v3, 0x7c, v3
	v_lshrrev_b32_e32 v4, 3, v28
	ds_store_b32 v23, v6 offset:1280
	v_add_nc_u32_e32 v24, v1, v19
	v_and_b32_e32 v1, 60, v2
	v_lshrrev_b32_e32 v2, 3, v29
	v_add_nc_u32_e32 v26, v3, v19
	v_lshrrev_b32_e32 v3, 3, v32
	v_and_b32_e32 v4, 0x7c, v4
	v_add_nc_u32_e32 v25, v1, v19
	v_and_b32_e32 v1, 0x7c, v2
	v_lshrrev_b32_e32 v2, 3, v30
	v_and_b32_e32 v3, 0x7c, v3
	v_add_nc_u32_e32 v27, v4, v19
	v_lshrrev_b32_e32 v4, 3, v33
	v_add_nc_u32_e32 v28, v1, v19
	v_and_b32_e32 v1, 0x7c, v2
	v_lshrrev_b32_e32 v2, 3, v31
	v_add_nc_u32_e32 v31, v3, v19
	v_lshrrev_b32_e32 v3, 1, v0
	v_and_b32_e32 v4, 0x7c, v4
	v_add_nc_u32_e32 v29, v1, v19
	v_and_b32_e32 v1, 0x7c, v2
	v_lshrrev_b32_e32 v2, 3, v34
	ds_store_b32 v24, v7 offset:1536
	v_add_nc_u32_e32 v32, v4, v19
	ds_store_b32 v25, v8 offset:1792
	v_add_nc_u32_e32 v30, v1, v19
	v_and_b32_e32 v1, 0x7c, v2
	v_lshlrev_b32_e32 v2, 4, v0
	ds_store_b32 v26, v9 offset:2048
	ds_store_b32 v27, v10 offset:2304
	;; [unrolled: 1-line block ×4, first 2 shown]
	v_add_nc_u32_e32 v33, v1, v19
	v_add_lshl_u32 v34, v3, v2, 2
	ds_store_b32 v30, v13 offset:3072
	ds_store_b32 v31, v14 offset:3328
	;; [unrolled: 1-line block ×3, first 2 shown]
	s_mov_b32 s18, exec_lo
	ds_store_b32 v33, v16 offset:3840
	s_waitcnt lgkmcnt(0)
	s_barrier
	buffer_gl0_inv
	ds_load_2addr_b32 v[9:10], v34 offset1:1
	ds_load_2addr_b32 v[5:6], v34 offset0:2 offset1:3
	ds_load_2addr_b32 v[3:4], v34 offset0:4 offset1:5
	;; [unrolled: 1-line block ×5, first 2 shown]
	s_waitcnt lgkmcnt(5)
	v_add_nc_u32_e32 v7, v10, v9
	s_waitcnt lgkmcnt(4)
	s_delay_alu instid0(VALU_DEP_1) | instskip(SKIP_1) | instid1(VALU_DEP_1)
	v_add3_u32 v7, v7, v5, v6
	s_waitcnt lgkmcnt(3)
	v_add3_u32 v35, v7, v3, v4
	ds_load_2addr_b32 v[15:16], v34 offset0:12 offset1:13
	ds_load_2addr_b32 v[7:8], v34 offset0:14 offset1:15
	s_waitcnt lgkmcnt(0)
	s_barrier
	buffer_gl0_inv
	v_add3_u32 v35, v35, v1, v2
	s_delay_alu instid0(VALU_DEP_1) | instskip(NEXT) | instid1(VALU_DEP_1)
	v_add3_u32 v35, v35, v11, v12
	v_add3_u32 v35, v35, v13, v14
	s_delay_alu instid0(VALU_DEP_1) | instskip(NEXT) | instid1(VALU_DEP_1)
	v_add3_u32 v35, v35, v15, v16
	v_add3_u32 v8, v35, v7, v8
	ds_store_b32 v17, v8
	s_waitcnt lgkmcnt(0)
	s_barrier
	buffer_gl0_inv
	v_cmpx_gt_u32_e32 32, v0
	s_cbranch_execz .LBB17_34
; %bb.33:
	v_lshrrev_b32_e32 v35, 2, v0
	v_mbcnt_lo_u32_b32 v38, -1, 0
	s_delay_alu instid0(VALU_DEP_2) | instskip(NEXT) | instid1(VALU_DEP_2)
	v_and_b32_e32 v35, 12, v35
	v_and_b32_e32 v40, 15, v38
	v_add_nc_u32_e32 v42, -1, v38
	s_delay_alu instid0(VALU_DEP_3) | instskip(NEXT) | instid1(VALU_DEP_3)
	v_lshl_or_b32 v37, v0, 3, v35
	v_cmp_ne_u32_e64 s17, 0, v40
	ds_load_2addr_b32 v[35:36], v37 offset1:1
	s_waitcnt lgkmcnt(0)
	v_add_nc_u32_e32 v39, v36, v35
	s_delay_alu instid0(VALU_DEP_1) | instskip(NEXT) | instid1(VALU_DEP_1)
	v_mov_b32_dpp v41, v39 row_shr:1 row_mask:0xf bank_mask:0xf
	v_cndmask_b32_e64 v41, 0, v41, s17
	v_cmp_lt_u32_e64 s17, 1, v40
	s_delay_alu instid0(VALU_DEP_2) | instskip(NEXT) | instid1(VALU_DEP_1)
	v_add_nc_u32_e32 v39, v41, v39
	v_mov_b32_dpp v41, v39 row_shr:2 row_mask:0xf bank_mask:0xf
	s_delay_alu instid0(VALU_DEP_1) | instskip(SKIP_1) | instid1(VALU_DEP_2)
	v_cndmask_b32_e64 v41, 0, v41, s17
	v_cmp_lt_u32_e64 s17, 3, v40
	v_add_nc_u32_e32 v39, v39, v41
	s_delay_alu instid0(VALU_DEP_1) | instskip(NEXT) | instid1(VALU_DEP_1)
	v_mov_b32_dpp v41, v39 row_shr:4 row_mask:0xf bank_mask:0xf
	v_cndmask_b32_e64 v41, 0, v41, s17
	v_cmp_lt_u32_e64 s17, 7, v40
	s_delay_alu instid0(VALU_DEP_2) | instskip(NEXT) | instid1(VALU_DEP_1)
	v_add_nc_u32_e32 v39, v39, v41
	v_mov_b32_dpp v41, v39 row_shr:8 row_mask:0xf bank_mask:0xf
	s_delay_alu instid0(VALU_DEP_1) | instskip(SKIP_2) | instid1(VALU_DEP_3)
	v_cndmask_b32_e64 v40, 0, v41, s17
	v_bfe_i32 v41, v38, 4, 1
	v_cmp_gt_i32_e64 s17, 0, v42
	v_add_nc_u32_e32 v39, v39, v40
	s_delay_alu instid0(VALU_DEP_2)
	v_cndmask_b32_e64 v38, v42, v38, s17
	v_cmp_eq_u32_e64 s17, 0, v0
	ds_swizzle_b32 v40, v39 offset:swizzle(BROADCAST,32,15)
	v_lshlrev_b32_e32 v38, 2, v38
	s_waitcnt lgkmcnt(0)
	v_and_b32_e32 v40, v41, v40
	s_delay_alu instid0(VALU_DEP_1) | instskip(SKIP_3) | instid1(VALU_DEP_1)
	v_add_nc_u32_e32 v39, v39, v40
	ds_bpermute_b32 v38, v38, v39
	s_waitcnt lgkmcnt(0)
	v_add_nc_u32_e32 v35, v38, v35
	v_cndmask_b32_e64 v8, v35, v8, s17
	s_delay_alu instid0(VALU_DEP_1)
	v_add_nc_u32_e32 v35, v8, v36
	ds_store_2addr_b32 v37, v8, v35 offset1:1
.LBB17_34:
	s_or_b32 exec_lo, exec_lo, s18
	s_load_b32 s18, s[0:1], 0x10
	s_mov_b32 s19, exec_lo
	s_waitcnt lgkmcnt(0)
	s_barrier
	buffer_gl0_inv
	v_mov_b32_e32 v8, s18
	v_cmpx_ne_u32_e32 0, v0
	s_cbranch_execz .LBB17_36
; %bb.35:
	v_add_nc_u32_e32 v0, -1, v0
	s_delay_alu instid0(VALU_DEP_1) | instskip(NEXT) | instid1(VALU_DEP_1)
	v_lshrrev_b32_e32 v8, 5, v0
	v_add_lshl_u32 v0, v8, v0, 2
	ds_load_b32 v0, v0
	s_waitcnt lgkmcnt(0)
	v_add_nc_u32_e32 v8, s18, v0
.LBB17_36:
	s_or_b32 exec_lo, exec_lo, s19
	s_delay_alu instid0(VALU_DEP_1) | instskip(SKIP_4) | instid1(VALU_DEP_1)
	v_add_nc_u32_e32 v0, v8, v9
	s_barrier
	buffer_gl0_inv
	s_load_b64 s[0:1], s[0:1], 0x18
	v_add_nc_u32_e32 v9, v0, v10
	v_add_nc_u32_e32 v5, v9, v5
	s_delay_alu instid0(VALU_DEP_1) | instskip(NEXT) | instid1(VALU_DEP_1)
	v_add_nc_u32_e32 v6, v5, v6
	v_add_nc_u32_e32 v3, v6, v3
	s_delay_alu instid0(VALU_DEP_1) | instskip(NEXT) | instid1(VALU_DEP_1)
	;; [unrolled: 3-line block ×6, first 2 shown]
	v_add_nc_u32_e32 v15, v14, v16
	v_add_nc_u32_e32 v7, v15, v7
	ds_store_2addr_b32 v34, v8, v0 offset1:1
	ds_store_2addr_b32 v34, v9, v5 offset0:2 offset1:3
	ds_store_2addr_b32 v34, v6, v3 offset0:4 offset1:5
	;; [unrolled: 1-line block ×7, first 2 shown]
	s_waitcnt lgkmcnt(0)
	s_barrier
	buffer_gl0_inv
	ds_load_b32 v16, v18 offset:256
	ds_load_b32 v15, v21 offset:512
	;; [unrolled: 1-line block ×15, first 2 shown]
	v_add_co_u32 v0, s0, s0, v19
	s_delay_alu instid0(VALU_DEP_1)
	v_add_co_ci_u32_e64 v1, null, s1, 0, s0
	s_and_saveexec_b32 s0, vcc_lo
	s_cbranch_execnz .LBB17_53
; %bb.37:
	s_or_b32 exec_lo, exec_lo, s0
	s_and_saveexec_b32 s0, s2
	s_cbranch_execnz .LBB17_54
.LBB17_38:
	s_or_b32 exec_lo, exec_lo, s0
	s_and_saveexec_b32 s0, s3
	s_cbranch_execnz .LBB17_55
.LBB17_39:
	s_or_b32 exec_lo, exec_lo, s0
	s_and_saveexec_b32 s0, s4
	s_cbranch_execnz .LBB17_56
.LBB17_40:
	s_or_b32 exec_lo, exec_lo, s0
	s_and_saveexec_b32 s0, s5
	s_cbranch_execnz .LBB17_57
.LBB17_41:
	s_or_b32 exec_lo, exec_lo, s0
	s_and_saveexec_b32 s0, s6
	s_cbranch_execnz .LBB17_58
.LBB17_42:
	s_or_b32 exec_lo, exec_lo, s0
	s_and_saveexec_b32 s0, s7
	s_cbranch_execnz .LBB17_59
.LBB17_43:
	s_or_b32 exec_lo, exec_lo, s0
	s_and_saveexec_b32 s0, s8
	s_cbranch_execnz .LBB17_60
.LBB17_44:
	s_or_b32 exec_lo, exec_lo, s0
	s_and_saveexec_b32 s0, s9
	s_cbranch_execnz .LBB17_61
.LBB17_45:
	s_or_b32 exec_lo, exec_lo, s0
	s_and_saveexec_b32 s0, s10
	s_cbranch_execnz .LBB17_62
.LBB17_46:
	s_or_b32 exec_lo, exec_lo, s0
	s_and_saveexec_b32 s0, s11
	s_cbranch_execnz .LBB17_63
.LBB17_47:
	s_or_b32 exec_lo, exec_lo, s0
	s_and_saveexec_b32 s0, s12
	s_cbranch_execnz .LBB17_64
.LBB17_48:
	s_or_b32 exec_lo, exec_lo, s0
	s_and_saveexec_b32 s0, s13
	s_cbranch_execnz .LBB17_65
.LBB17_49:
	s_or_b32 exec_lo, exec_lo, s0
	s_and_saveexec_b32 s0, s14
	s_cbranch_execnz .LBB17_66
.LBB17_50:
	s_or_b32 exec_lo, exec_lo, s0
	s_and_saveexec_b32 s0, s15
	s_cbranch_execnz .LBB17_67
.LBB17_51:
	s_or_b32 exec_lo, exec_lo, s0
	s_and_saveexec_b32 s0, s16
	s_cbranch_execnz .LBB17_68
.LBB17_52:
	s_nop 0
	s_sendmsg sendmsg(MSG_DEALLOC_VGPRS)
	s_endpgm
.LBB17_53:
	ds_load_b32 v17, v17
	s_waitcnt lgkmcnt(0)
	global_store_b32 v[0:1], v17, off
	s_or_b32 exec_lo, exec_lo, s0
	s_and_saveexec_b32 s0, s2
	s_cbranch_execz .LBB17_38
.LBB17_54:
	s_waitcnt lgkmcnt(14)
	global_store_b32 v[0:1], v16, off offset:256
	s_or_b32 exec_lo, exec_lo, s0
	s_and_saveexec_b32 s0, s3
	s_cbranch_execz .LBB17_39
.LBB17_55:
	s_waitcnt lgkmcnt(13)
	global_store_b32 v[0:1], v15, off offset:512
	s_or_b32 exec_lo, exec_lo, s0
	s_and_saveexec_b32 s0, s4
	s_cbranch_execz .LBB17_40
.LBB17_56:
	s_waitcnt lgkmcnt(12)
	global_store_b32 v[0:1], v14, off offset:768
	s_or_b32 exec_lo, exec_lo, s0
	s_and_saveexec_b32 s0, s5
	s_cbranch_execz .LBB17_41
.LBB17_57:
	s_waitcnt lgkmcnt(11)
	global_store_b32 v[0:1], v13, off offset:1024
	s_or_b32 exec_lo, exec_lo, s0
	s_and_saveexec_b32 s0, s6
	s_cbranch_execz .LBB17_42
.LBB17_58:
	s_waitcnt lgkmcnt(10)
	global_store_b32 v[0:1], v12, off offset:1280
	s_or_b32 exec_lo, exec_lo, s0
	s_and_saveexec_b32 s0, s7
	s_cbranch_execz .LBB17_43
.LBB17_59:
	s_waitcnt lgkmcnt(9)
	global_store_b32 v[0:1], v11, off offset:1536
	s_or_b32 exec_lo, exec_lo, s0
	s_and_saveexec_b32 s0, s8
	s_cbranch_execz .LBB17_44
.LBB17_60:
	s_waitcnt lgkmcnt(8)
	global_store_b32 v[0:1], v10, off offset:1792
	s_or_b32 exec_lo, exec_lo, s0
	s_and_saveexec_b32 s0, s9
	s_cbranch_execz .LBB17_45
.LBB17_61:
	s_waitcnt lgkmcnt(7)
	global_store_b32 v[0:1], v9, off offset:2048
	s_or_b32 exec_lo, exec_lo, s0
	s_and_saveexec_b32 s0, s10
	s_cbranch_execz .LBB17_46
.LBB17_62:
	s_waitcnt lgkmcnt(6)
	global_store_b32 v[0:1], v8, off offset:2304
	s_or_b32 exec_lo, exec_lo, s0
	s_and_saveexec_b32 s0, s11
	s_cbranch_execz .LBB17_47
.LBB17_63:
	s_waitcnt lgkmcnt(5)
	global_store_b32 v[0:1], v7, off offset:2560
	s_or_b32 exec_lo, exec_lo, s0
	s_and_saveexec_b32 s0, s12
	s_cbranch_execz .LBB17_48
.LBB17_64:
	s_waitcnt lgkmcnt(4)
	global_store_b32 v[0:1], v6, off offset:2816
	s_or_b32 exec_lo, exec_lo, s0
	s_and_saveexec_b32 s0, s13
	s_cbranch_execz .LBB17_49
.LBB17_65:
	s_waitcnt lgkmcnt(3)
	global_store_b32 v[0:1], v5, off offset:3072
	s_or_b32 exec_lo, exec_lo, s0
	s_and_saveexec_b32 s0, s14
	s_cbranch_execz .LBB17_50
.LBB17_66:
	s_waitcnt lgkmcnt(2)
	global_store_b32 v[0:1], v4, off offset:3328
	s_or_b32 exec_lo, exec_lo, s0
	s_and_saveexec_b32 s0, s15
	s_cbranch_execz .LBB17_51
.LBB17_67:
	s_waitcnt lgkmcnt(1)
	global_store_b32 v[0:1], v3, off offset:3584
	s_or_b32 exec_lo, exec_lo, s0
	s_and_saveexec_b32 s0, s16
	s_cbranch_execz .LBB17_52
.LBB17_68:
	s_waitcnt lgkmcnt(0)
	global_store_b32 v[0:1], v2, off offset:3840
	s_nop 0
	s_sendmsg sendmsg(MSG_DEALLOC_VGPRS)
	s_endpgm
	.section	.rodata,"a",@progbits
	.p2align	6, 0x0
	.amdhsa_kernel _ZN7rocprim17ROCPRIM_304000_NS6detail18single_scan_kernelILb1ENS1_19wrapped_scan_configINS0_14default_configEiEEPKiPiN2at4cuda3cub12_GLOBAL__N_15SumOpIiEEiiEEvT1_mT4_T2_T3_
		.amdhsa_group_segment_fixed_size 4224
		.amdhsa_private_segment_fixed_size 0
		.amdhsa_kernarg_size 36
		.amdhsa_user_sgpr_count 15
		.amdhsa_user_sgpr_dispatch_ptr 0
		.amdhsa_user_sgpr_queue_ptr 0
		.amdhsa_user_sgpr_kernarg_segment_ptr 1
		.amdhsa_user_sgpr_dispatch_id 0
		.amdhsa_user_sgpr_private_segment_size 0
		.amdhsa_wavefront_size32 1
		.amdhsa_uses_dynamic_stack 0
		.amdhsa_enable_private_segment 0
		.amdhsa_system_sgpr_workgroup_id_x 1
		.amdhsa_system_sgpr_workgroup_id_y 0
		.amdhsa_system_sgpr_workgroup_id_z 0
		.amdhsa_system_sgpr_workgroup_info 0
		.amdhsa_system_vgpr_workitem_id 0
		.amdhsa_next_free_vgpr 43
		.amdhsa_next_free_sgpr 24
		.amdhsa_reserve_vcc 1
		.amdhsa_float_round_mode_32 0
		.amdhsa_float_round_mode_16_64 0
		.amdhsa_float_denorm_mode_32 3
		.amdhsa_float_denorm_mode_16_64 3
		.amdhsa_dx10_clamp 1
		.amdhsa_ieee_mode 1
		.amdhsa_fp16_overflow 0
		.amdhsa_workgroup_processor_mode 1
		.amdhsa_memory_ordered 1
		.amdhsa_forward_progress 0
		.amdhsa_shared_vgpr_count 0
		.amdhsa_exception_fp_ieee_invalid_op 0
		.amdhsa_exception_fp_denorm_src 0
		.amdhsa_exception_fp_ieee_div_zero 0
		.amdhsa_exception_fp_ieee_overflow 0
		.amdhsa_exception_fp_ieee_underflow 0
		.amdhsa_exception_fp_ieee_inexact 0
		.amdhsa_exception_int_div_zero 0
	.end_amdhsa_kernel
	.section	.text._ZN7rocprim17ROCPRIM_304000_NS6detail18single_scan_kernelILb1ENS1_19wrapped_scan_configINS0_14default_configEiEEPKiPiN2at4cuda3cub12_GLOBAL__N_15SumOpIiEEiiEEvT1_mT4_T2_T3_,"axG",@progbits,_ZN7rocprim17ROCPRIM_304000_NS6detail18single_scan_kernelILb1ENS1_19wrapped_scan_configINS0_14default_configEiEEPKiPiN2at4cuda3cub12_GLOBAL__N_15SumOpIiEEiiEEvT1_mT4_T2_T3_,comdat
.Lfunc_end17:
	.size	_ZN7rocprim17ROCPRIM_304000_NS6detail18single_scan_kernelILb1ENS1_19wrapped_scan_configINS0_14default_configEiEEPKiPiN2at4cuda3cub12_GLOBAL__N_15SumOpIiEEiiEEvT1_mT4_T2_T3_, .Lfunc_end17-_ZN7rocprim17ROCPRIM_304000_NS6detail18single_scan_kernelILb1ENS1_19wrapped_scan_configINS0_14default_configEiEEPKiPiN2at4cuda3cub12_GLOBAL__N_15SumOpIiEEiiEEvT1_mT4_T2_T3_
                                        ; -- End function
	.section	.AMDGPU.csdata,"",@progbits
; Kernel info:
; codeLenInByte = 2748
; NumSgprs: 26
; NumVgprs: 43
; ScratchSize: 0
; MemoryBound: 0
; FloatMode: 240
; IeeeMode: 1
; LDSByteSize: 4224 bytes/workgroup (compile time only)
; SGPRBlocks: 3
; VGPRBlocks: 5
; NumSGPRsForWavesPerEU: 26
; NumVGPRsForWavesPerEU: 43
; Occupancy: 16
; WaveLimiterHint : 0
; COMPUTE_PGM_RSRC2:SCRATCH_EN: 0
; COMPUTE_PGM_RSRC2:USER_SGPR: 15
; COMPUTE_PGM_RSRC2:TRAP_HANDLER: 0
; COMPUTE_PGM_RSRC2:TGID_X_EN: 1
; COMPUTE_PGM_RSRC2:TGID_Y_EN: 0
; COMPUTE_PGM_RSRC2:TGID_Z_EN: 0
; COMPUTE_PGM_RSRC2:TIDIG_COMP_CNT: 0
	.section	.text._ZN7rocprim17ROCPRIM_304000_NS6detail20lookback_scan_kernelILNS1_25lookback_scan_determinismE0ELb1ENS1_19wrapped_scan_configINS0_14default_configElEEPKlPlN2at4cuda3cub12_GLOBAL__N_15SumOpIlEEllNS1_19lookback_scan_stateIlLb1ELb1EEEEEvT2_T3_mT5_T4_T7_jPT6_SO_bb,"axG",@progbits,_ZN7rocprim17ROCPRIM_304000_NS6detail20lookback_scan_kernelILNS1_25lookback_scan_determinismE0ELb1ENS1_19wrapped_scan_configINS0_14default_configElEEPKlPlN2at4cuda3cub12_GLOBAL__N_15SumOpIlEEllNS1_19lookback_scan_stateIlLb1ELb1EEEEEvT2_T3_mT5_T4_T7_jPT6_SO_bb,comdat
	.globl	_ZN7rocprim17ROCPRIM_304000_NS6detail20lookback_scan_kernelILNS1_25lookback_scan_determinismE0ELb1ENS1_19wrapped_scan_configINS0_14default_configElEEPKlPlN2at4cuda3cub12_GLOBAL__N_15SumOpIlEEllNS1_19lookback_scan_stateIlLb1ELb1EEEEEvT2_T3_mT5_T4_T7_jPT6_SO_bb ; -- Begin function _ZN7rocprim17ROCPRIM_304000_NS6detail20lookback_scan_kernelILNS1_25lookback_scan_determinismE0ELb1ENS1_19wrapped_scan_configINS0_14default_configElEEPKlPlN2at4cuda3cub12_GLOBAL__N_15SumOpIlEEllNS1_19lookback_scan_stateIlLb1ELb1EEEEEvT2_T3_mT5_T4_T7_jPT6_SO_bb
	.p2align	8
	.type	_ZN7rocprim17ROCPRIM_304000_NS6detail20lookback_scan_kernelILNS1_25lookback_scan_determinismE0ELb1ENS1_19wrapped_scan_configINS0_14default_configElEEPKlPlN2at4cuda3cub12_GLOBAL__N_15SumOpIlEEllNS1_19lookback_scan_stateIlLb1ELb1EEEEEvT2_T3_mT5_T4_T7_jPT6_SO_bb,@function
_ZN7rocprim17ROCPRIM_304000_NS6detail20lookback_scan_kernelILNS1_25lookback_scan_determinismE0ELb1ENS1_19wrapped_scan_configINS0_14default_configElEEPKlPlN2at4cuda3cub12_GLOBAL__N_15SumOpIlEEllNS1_19lookback_scan_stateIlLb1ELb1EEEEEvT2_T3_mT5_T4_T7_jPT6_SO_bb: ; @_ZN7rocprim17ROCPRIM_304000_NS6detail20lookback_scan_kernelILNS1_25lookback_scan_determinismE0ELb1ENS1_19wrapped_scan_configINS0_14default_configElEEPKlPlN2at4cuda3cub12_GLOBAL__N_15SumOpIlEEllNS1_19lookback_scan_stateIlLb1ELb1EEEEEvT2_T3_mT5_T4_T7_jPT6_SO_bb
; %bb.0:
	s_endpgm
	.section	.rodata,"a",@progbits
	.p2align	6, 0x0
	.amdhsa_kernel _ZN7rocprim17ROCPRIM_304000_NS6detail20lookback_scan_kernelILNS1_25lookback_scan_determinismE0ELb1ENS1_19wrapped_scan_configINS0_14default_configElEEPKlPlN2at4cuda3cub12_GLOBAL__N_15SumOpIlEEllNS1_19lookback_scan_stateIlLb1ELb1EEEEEvT2_T3_mT5_T4_T7_jPT6_SO_bb
		.amdhsa_group_segment_fixed_size 0
		.amdhsa_private_segment_fixed_size 0
		.amdhsa_kernarg_size 76
		.amdhsa_user_sgpr_count 15
		.amdhsa_user_sgpr_dispatch_ptr 0
		.amdhsa_user_sgpr_queue_ptr 0
		.amdhsa_user_sgpr_kernarg_segment_ptr 1
		.amdhsa_user_sgpr_dispatch_id 0
		.amdhsa_user_sgpr_private_segment_size 0
		.amdhsa_wavefront_size32 1
		.amdhsa_uses_dynamic_stack 0
		.amdhsa_enable_private_segment 0
		.amdhsa_system_sgpr_workgroup_id_x 1
		.amdhsa_system_sgpr_workgroup_id_y 0
		.amdhsa_system_sgpr_workgroup_id_z 0
		.amdhsa_system_sgpr_workgroup_info 0
		.amdhsa_system_vgpr_workitem_id 0
		.amdhsa_next_free_vgpr 1
		.amdhsa_next_free_sgpr 1
		.amdhsa_reserve_vcc 0
		.amdhsa_float_round_mode_32 0
		.amdhsa_float_round_mode_16_64 0
		.amdhsa_float_denorm_mode_32 3
		.amdhsa_float_denorm_mode_16_64 3
		.amdhsa_dx10_clamp 1
		.amdhsa_ieee_mode 1
		.amdhsa_fp16_overflow 0
		.amdhsa_workgroup_processor_mode 1
		.amdhsa_memory_ordered 1
		.amdhsa_forward_progress 0
		.amdhsa_shared_vgpr_count 0
		.amdhsa_exception_fp_ieee_invalid_op 0
		.amdhsa_exception_fp_denorm_src 0
		.amdhsa_exception_fp_ieee_div_zero 0
		.amdhsa_exception_fp_ieee_overflow 0
		.amdhsa_exception_fp_ieee_underflow 0
		.amdhsa_exception_fp_ieee_inexact 0
		.amdhsa_exception_int_div_zero 0
	.end_amdhsa_kernel
	.section	.text._ZN7rocprim17ROCPRIM_304000_NS6detail20lookback_scan_kernelILNS1_25lookback_scan_determinismE0ELb1ENS1_19wrapped_scan_configINS0_14default_configElEEPKlPlN2at4cuda3cub12_GLOBAL__N_15SumOpIlEEllNS1_19lookback_scan_stateIlLb1ELb1EEEEEvT2_T3_mT5_T4_T7_jPT6_SO_bb,"axG",@progbits,_ZN7rocprim17ROCPRIM_304000_NS6detail20lookback_scan_kernelILNS1_25lookback_scan_determinismE0ELb1ENS1_19wrapped_scan_configINS0_14default_configElEEPKlPlN2at4cuda3cub12_GLOBAL__N_15SumOpIlEEllNS1_19lookback_scan_stateIlLb1ELb1EEEEEvT2_T3_mT5_T4_T7_jPT6_SO_bb,comdat
.Lfunc_end18:
	.size	_ZN7rocprim17ROCPRIM_304000_NS6detail20lookback_scan_kernelILNS1_25lookback_scan_determinismE0ELb1ENS1_19wrapped_scan_configINS0_14default_configElEEPKlPlN2at4cuda3cub12_GLOBAL__N_15SumOpIlEEllNS1_19lookback_scan_stateIlLb1ELb1EEEEEvT2_T3_mT5_T4_T7_jPT6_SO_bb, .Lfunc_end18-_ZN7rocprim17ROCPRIM_304000_NS6detail20lookback_scan_kernelILNS1_25lookback_scan_determinismE0ELb1ENS1_19wrapped_scan_configINS0_14default_configElEEPKlPlN2at4cuda3cub12_GLOBAL__N_15SumOpIlEEllNS1_19lookback_scan_stateIlLb1ELb1EEEEEvT2_T3_mT5_T4_T7_jPT6_SO_bb
                                        ; -- End function
	.section	.AMDGPU.csdata,"",@progbits
; Kernel info:
; codeLenInByte = 4
; NumSgprs: 0
; NumVgprs: 0
; ScratchSize: 0
; MemoryBound: 0
; FloatMode: 240
; IeeeMode: 1
; LDSByteSize: 0 bytes/workgroup (compile time only)
; SGPRBlocks: 0
; VGPRBlocks: 0
; NumSGPRsForWavesPerEU: 1
; NumVGPRsForWavesPerEU: 1
; Occupancy: 16
; WaveLimiterHint : 0
; COMPUTE_PGM_RSRC2:SCRATCH_EN: 0
; COMPUTE_PGM_RSRC2:USER_SGPR: 15
; COMPUTE_PGM_RSRC2:TRAP_HANDLER: 0
; COMPUTE_PGM_RSRC2:TGID_X_EN: 1
; COMPUTE_PGM_RSRC2:TGID_Y_EN: 0
; COMPUTE_PGM_RSRC2:TGID_Z_EN: 0
; COMPUTE_PGM_RSRC2:TIDIG_COMP_CNT: 0
	.section	.text._ZN7rocprim17ROCPRIM_304000_NS6detail20lookback_scan_kernelILNS1_25lookback_scan_determinismE0ELb1ENS1_19wrapped_scan_configINS0_14default_configElEEPKlPlN2at4cuda3cub12_GLOBAL__N_15SumOpIlEEllNS1_19lookback_scan_stateIlLb0ELb1EEEEEvT2_T3_mT5_T4_T7_jPT6_SO_bb,"axG",@progbits,_ZN7rocprim17ROCPRIM_304000_NS6detail20lookback_scan_kernelILNS1_25lookback_scan_determinismE0ELb1ENS1_19wrapped_scan_configINS0_14default_configElEEPKlPlN2at4cuda3cub12_GLOBAL__N_15SumOpIlEEllNS1_19lookback_scan_stateIlLb0ELb1EEEEEvT2_T3_mT5_T4_T7_jPT6_SO_bb,comdat
	.globl	_ZN7rocprim17ROCPRIM_304000_NS6detail20lookback_scan_kernelILNS1_25lookback_scan_determinismE0ELb1ENS1_19wrapped_scan_configINS0_14default_configElEEPKlPlN2at4cuda3cub12_GLOBAL__N_15SumOpIlEEllNS1_19lookback_scan_stateIlLb0ELb1EEEEEvT2_T3_mT5_T4_T7_jPT6_SO_bb ; -- Begin function _ZN7rocprim17ROCPRIM_304000_NS6detail20lookback_scan_kernelILNS1_25lookback_scan_determinismE0ELb1ENS1_19wrapped_scan_configINS0_14default_configElEEPKlPlN2at4cuda3cub12_GLOBAL__N_15SumOpIlEEllNS1_19lookback_scan_stateIlLb0ELb1EEEEEvT2_T3_mT5_T4_T7_jPT6_SO_bb
	.p2align	8
	.type	_ZN7rocprim17ROCPRIM_304000_NS6detail20lookback_scan_kernelILNS1_25lookback_scan_determinismE0ELb1ENS1_19wrapped_scan_configINS0_14default_configElEEPKlPlN2at4cuda3cub12_GLOBAL__N_15SumOpIlEEllNS1_19lookback_scan_stateIlLb0ELb1EEEEEvT2_T3_mT5_T4_T7_jPT6_SO_bb,@function
_ZN7rocprim17ROCPRIM_304000_NS6detail20lookback_scan_kernelILNS1_25lookback_scan_determinismE0ELb1ENS1_19wrapped_scan_configINS0_14default_configElEEPKlPlN2at4cuda3cub12_GLOBAL__N_15SumOpIlEEllNS1_19lookback_scan_stateIlLb0ELb1EEEEEvT2_T3_mT5_T4_T7_jPT6_SO_bb: ; @_ZN7rocprim17ROCPRIM_304000_NS6detail20lookback_scan_kernelILNS1_25lookback_scan_determinismE0ELb1ENS1_19wrapped_scan_configINS0_14default_configElEEPKlPlN2at4cuda3cub12_GLOBAL__N_15SumOpIlEEllNS1_19lookback_scan_stateIlLb0ELb1EEEEEvT2_T3_mT5_T4_T7_jPT6_SO_bb
; %bb.0:
	s_clause 0x1
	s_load_b32 s12, s[0:1], 0x30
	s_load_b256 s[4:11], s[0:1], 0x0
	s_lshl_b32 s2, s15, 12
	s_mov_b32 s3, 0
	v_lshlrev_b32_e32 v80, 3, v0
	v_lshrrev_b32_e32 v37, 2, v0
	v_or_b32_e32 v79, 0x100, v0
	v_or_b32_e32 v78, 0x200, v0
	;; [unrolled: 1-line block ×14, first 2 shown]
	s_waitcnt lgkmcnt(0)
	s_add_i32 s12, s12, -1
	v_or_b32_e32 v65, 0xf00, v0
	s_lshl_b32 s13, s12, 12
	s_delay_alu instid0(SALU_CYCLE_1)
	s_sub_u32 s18, s8, s13
	s_subb_u32 s19, s9, 0
	s_cmp_lg_u32 s15, s12
	s_cselect_b32 s20, -1, 0
	s_lshl_b64 s[8:9], s[2:3], 3
	s_mov_b32 s3, -1
	s_add_u32 s12, s4, s8
	s_addc_u32 s13, s5, s9
	s_and_b32 vcc_lo, exec_lo, s20
	s_cbranch_vccz .LBB19_2
; %bb.1:
	v_add_co_u32 v27, s2, s12, v80
	s_delay_alu instid0(VALU_DEP_1)
	v_add_co_ci_u32_e64 v28, null, s13, 0, s2
	s_clause 0x1
	global_load_b64 v[1:2], v80, s[12:13]
	global_load_b64 v[3:4], v80, s[12:13] offset:2048
	v_add_co_u32 v5, vcc_lo, 0x1000, v27
	v_add_co_ci_u32_e32 v6, vcc_lo, 0, v28, vcc_lo
	v_add_co_u32 v7, vcc_lo, v27, 0x2000
	v_add_co_ci_u32_e32 v8, vcc_lo, 0, v28, vcc_lo
	;; [unrolled: 2-line block ×10, first 2 shown]
	s_clause 0xd
	global_load_b64 v[17:18], v[7:8], off offset:-4096
	global_load_b64 v[7:8], v[7:8], off
	global_load_b64 v[19:20], v[13:14], off offset:-4096
	global_load_b64 v[13:14], v[13:14], off
	global_load_b64 v[5:6], v[5:6], off offset:2048
	global_load_b64 v[9:10], v[9:10], off offset:2048
	;; [unrolled: 1-line block ×4, first 2 shown]
	global_load_b64 v[29:30], v[23:24], off offset:-4096
	global_load_b64 v[21:22], v[21:22], off offset:2048
	global_load_b64 v[23:24], v[23:24], off
	global_load_b64 v[25:26], v[25:26], off offset:2048
	global_load_b64 v[31:32], v[27:28], off
	global_load_b64 v[27:28], v[27:28], off offset:2048
	v_lshrrev_b32_e32 v34, 2, v79
	v_lshrrev_b32_e32 v35, 2, v78
	;; [unrolled: 1-line block ×4, first 2 shown]
	v_and_b32_e32 v33, 56, v37
	v_lshrrev_b32_e32 v39, 2, v75
	v_lshrrev_b32_e32 v40, 2, v74
	;; [unrolled: 1-line block ×11, first 2 shown]
	v_and_b32_e32 v34, 0x78, v34
	v_and_b32_e32 v35, 0xb8, v35
	;; [unrolled: 1-line block ×4, first 2 shown]
	v_add_nc_u32_e32 v33, v33, v80
	v_and_b32_e32 v39, 0x178, v39
	v_and_b32_e32 v40, 0x1b8, v40
	;; [unrolled: 1-line block ×11, first 2 shown]
	v_add_nc_u32_e32 v34, v34, v80
	v_add_nc_u32_e32 v35, v35, v80
	;; [unrolled: 1-line block ×4, first 2 shown]
	s_mov_b32 s3, 0
	v_add_nc_u32_e32 v39, v39, v80
	v_add_nc_u32_e32 v40, v40, v80
	;; [unrolled: 1-line block ×11, first 2 shown]
	s_waitcnt vmcnt(15)
	ds_store_b64 v33, v[1:2]
	s_waitcnt vmcnt(14)
	ds_store_b64 v34, v[3:4] offset:2048
	s_waitcnt vmcnt(13)
	ds_store_b64 v35, v[17:18] offset:4096
	;; [unrolled: 2-line block ×3, first 2 shown]
	ds_store_b64 v38, v[7:8] offset:8192
	s_waitcnt vmcnt(8)
	ds_store_b64 v39, v[9:10] offset:10240
	ds_store_b64 v40, v[19:20] offset:12288
	s_waitcnt vmcnt(7)
	ds_store_b64 v41, v[11:12] offset:14336
	ds_store_b64 v42, v[13:14] offset:16384
	s_waitcnt vmcnt(6)
	ds_store_b64 v43, v[15:16] offset:18432
	s_waitcnt vmcnt(5)
	ds_store_b64 v44, v[29:30] offset:20480
	s_waitcnt vmcnt(4)
	ds_store_b64 v45, v[21:22] offset:22528
	;; [unrolled: 2-line block ×6, first 2 shown]
	s_waitcnt lgkmcnt(0)
	s_barrier
.LBB19_2:
	v_cmp_gt_u32_e64 s2, s18, v0
	s_and_not1_b32 vcc_lo, exec_lo, s3
	s_cbranch_vccnz .LBB19_21
; %bb.3:
	s_load_b64 s[36:37], s[12:13], 0x0
	v_add_co_u32 v35, s3, s12, v80
	s_delay_alu instid0(VALU_DEP_1)
	v_add_co_ci_u32_e64 v36, null, s13, 0, s3
	s_waitcnt lgkmcnt(0)
	s_mov_b32 s38, s36
	s_mov_b32 s39, s37
	;; [unrolled: 1-line block ×30, first 2 shown]
	v_dual_mov_b32 v1, s36 :: v_dual_mov_b32 v2, s37
	v_dual_mov_b32 v3, s38 :: v_dual_mov_b32 v4, s39
	;; [unrolled: 1-line block ×17, first 2 shown]
	s_and_saveexec_b32 s3, s2
	s_cbranch_execnz .LBB19_168
; %bb.4:
	s_or_b32 exec_lo, exec_lo, s3
	s_delay_alu instid0(SALU_CYCLE_1)
	s_mov_b32 s2, exec_lo
	v_cmpx_gt_u32_e64 s18, v79
	s_cbranch_execnz .LBB19_169
.LBB19_5:
	s_or_b32 exec_lo, exec_lo, s2
	s_delay_alu instid0(SALU_CYCLE_1)
	s_mov_b32 s2, exec_lo
	v_cmpx_gt_u32_e64 s18, v78
	s_cbranch_execnz .LBB19_170
.LBB19_6:
	s_or_b32 exec_lo, exec_lo, s2
	s_delay_alu instid0(SALU_CYCLE_1)
	s_mov_b32 s2, exec_lo
	v_cmpx_gt_u32_e64 s18, v77
	s_cbranch_execnz .LBB19_171
.LBB19_7:
	s_or_b32 exec_lo, exec_lo, s2
	s_delay_alu instid0(SALU_CYCLE_1)
	s_mov_b32 s2, exec_lo
	v_cmpx_gt_u32_e64 s18, v76
	s_cbranch_execnz .LBB19_172
.LBB19_8:
	s_or_b32 exec_lo, exec_lo, s2
	s_delay_alu instid0(SALU_CYCLE_1)
	s_mov_b32 s2, exec_lo
	v_cmpx_gt_u32_e64 s18, v75
	s_cbranch_execnz .LBB19_173
.LBB19_9:
	s_or_b32 exec_lo, exec_lo, s2
	s_delay_alu instid0(SALU_CYCLE_1)
	s_mov_b32 s2, exec_lo
	v_cmpx_gt_u32_e64 s18, v74
	s_cbranch_execnz .LBB19_174
.LBB19_10:
	s_or_b32 exec_lo, exec_lo, s2
	s_delay_alu instid0(SALU_CYCLE_1)
	s_mov_b32 s2, exec_lo
	v_cmpx_gt_u32_e64 s18, v73
	s_cbranch_execnz .LBB19_175
.LBB19_11:
	s_or_b32 exec_lo, exec_lo, s2
	s_delay_alu instid0(SALU_CYCLE_1)
	s_mov_b32 s2, exec_lo
	v_cmpx_gt_u32_e64 s18, v72
	s_cbranch_execnz .LBB19_176
.LBB19_12:
	s_or_b32 exec_lo, exec_lo, s2
	s_delay_alu instid0(SALU_CYCLE_1)
	s_mov_b32 s2, exec_lo
	v_cmpx_gt_u32_e64 s18, v71
	s_cbranch_execnz .LBB19_177
.LBB19_13:
	s_or_b32 exec_lo, exec_lo, s2
	s_delay_alu instid0(SALU_CYCLE_1)
	s_mov_b32 s2, exec_lo
	v_cmpx_gt_u32_e64 s18, v70
	s_cbranch_execnz .LBB19_178
.LBB19_14:
	s_or_b32 exec_lo, exec_lo, s2
	s_delay_alu instid0(SALU_CYCLE_1)
	s_mov_b32 s2, exec_lo
	v_cmpx_gt_u32_e64 s18, v69
	s_cbranch_execnz .LBB19_179
.LBB19_15:
	s_or_b32 exec_lo, exec_lo, s2
	s_delay_alu instid0(SALU_CYCLE_1)
	s_mov_b32 s2, exec_lo
	v_cmpx_gt_u32_e64 s18, v68
	s_cbranch_execnz .LBB19_180
.LBB19_16:
	s_or_b32 exec_lo, exec_lo, s2
	s_delay_alu instid0(SALU_CYCLE_1)
	s_mov_b32 s2, exec_lo
	v_cmpx_gt_u32_e64 s18, v67
	s_cbranch_execnz .LBB19_181
.LBB19_17:
	s_or_b32 exec_lo, exec_lo, s2
	s_delay_alu instid0(SALU_CYCLE_1)
	s_mov_b32 s2, exec_lo
	v_cmpx_gt_u32_e64 s18, v66
	s_cbranch_execnz .LBB19_182
.LBB19_18:
	s_or_b32 exec_lo, exec_lo, s2
	s_delay_alu instid0(SALU_CYCLE_1)
	s_mov_b32 s2, exec_lo
	v_cmpx_gt_u32_e64 s18, v65
	s_cbranch_execz .LBB19_20
.LBB19_19:
	v_add_co_u32 v1, vcc_lo, 0x7000, v35
	v_add_co_ci_u32_e32 v2, vcc_lo, 0, v36, vcc_lo
	global_load_b64 v[31:32], v[1:2], off offset:2048
.LBB19_20:
	s_or_b32 exec_lo, exec_lo, s2
	v_lshrrev_b32_e32 v1, 2, v79
	v_lshrrev_b32_e32 v2, 2, v78
	;; [unrolled: 1-line block ×3, first 2 shown]
	v_and_b32_e32 v36, 56, v37
	v_lshrrev_b32_e32 v37, 2, v76
	v_and_b32_e32 v1, 0x78, v1
	v_and_b32_e32 v2, 0xf8, v2
	;; [unrolled: 1-line block ×3, first 2 shown]
	v_lshrrev_b32_e32 v38, 2, v75
	v_add_nc_u32_e32 v36, v36, v80
	v_add_nc_u32_e32 v1, v1, v80
	v_lshrrev_b32_e32 v39, 2, v74
	v_add_nc_u32_e32 v2, v2, v80
	v_lshrrev_b32_e32 v40, 2, v73
	v_add_nc_u32_e32 v35, v35, v80
	v_and_b32_e32 v37, 0x1f8, v37
	v_and_b32_e32 v38, 0x1f8, v38
	s_waitcnt vmcnt(0)
	ds_store_b64 v36, v[33:34]
	ds_store_b64 v1, v[3:4] offset:2048
	ds_store_b64 v2, v[5:6] offset:4096
	;; [unrolled: 1-line block ×3, first 2 shown]
	v_lshrrev_b32_e32 v5, 2, v72
	v_and_b32_e32 v3, 0x1f8, v39
	v_lshrrev_b32_e32 v6, 2, v71
	v_lshrrev_b32_e32 v7, 2, v70
	v_and_b32_e32 v4, 0x1f8, v40
	v_add_nc_u32_e32 v1, v37, v80
	v_add_nc_u32_e32 v2, v38, v80
	v_and_b32_e32 v5, 0x3f8, v5
	v_add_nc_u32_e32 v3, v3, v80
	v_and_b32_e32 v6, 0x3f8, v6
	v_and_b32_e32 v7, 0x3f8, v7
	v_add_nc_u32_e32 v4, v4, v80
	ds_store_b64 v1, v[9:10] offset:8192
	ds_store_b64 v2, v[11:12] offset:10240
	;; [unrolled: 1-line block ×4, first 2 shown]
	v_lshrrev_b32_e32 v4, 2, v69
	v_add_nc_u32_e32 v1, v5, v80
	v_lshrrev_b32_e32 v5, 2, v68
	v_add_nc_u32_e32 v2, v6, v80
	v_add_nc_u32_e32 v3, v7, v80
	v_lshrrev_b32_e32 v6, 2, v67
	v_lshrrev_b32_e32 v7, 2, v66
	;; [unrolled: 1-line block ×3, first 2 shown]
	v_and_b32_e32 v4, 0x3f8, v4
	v_and_b32_e32 v5, 0x3f8, v5
	;; [unrolled: 1-line block ×5, first 2 shown]
	v_add_nc_u32_e32 v4, v4, v80
	v_add_nc_u32_e32 v5, v5, v80
	;; [unrolled: 1-line block ×5, first 2 shown]
	ds_store_b64 v1, v[17:18] offset:16384
	ds_store_b64 v2, v[19:20] offset:18432
	;; [unrolled: 1-line block ×8, first 2 shown]
	s_waitcnt lgkmcnt(0)
	s_barrier
.LBB19_21:
	v_lshlrev_b32_e32 v1, 4, v0
	v_lshrrev_b32_e32 v82, 1, v0
	buffer_gl0_inv
	s_load_b64 s[16:17], s[0:1], 0x28
	v_lshrrev_b32_e32 v81, 5, v0
	v_cmp_gt_u32_e32 vcc_lo, 32, v0
	v_add_lshl_u32 v1, v82, v1, 3
	s_cmp_lg_u32 s15, 0
	ds_load_2addr_b64 v[61:64], v1 offset1:1
	ds_load_2addr_b64 v[57:60], v1 offset0:2 offset1:3
	ds_load_2addr_b64 v[53:56], v1 offset0:4 offset1:5
	;; [unrolled: 1-line block ×7, first 2 shown]
	s_waitcnt lgkmcnt(0)
	s_barrier
	buffer_gl0_inv
	s_cbranch_scc0 .LBB19_74
; %bb.22:
	v_add_co_u32 v1, s2, v63, v61
	s_delay_alu instid0(VALU_DEP_1) | instskip(SKIP_1) | instid1(VALU_DEP_3)
	v_add_co_ci_u32_e64 v2, s2, v64, v62, s2
	v_add_lshl_u32 v3, v81, v0, 3
	v_add_co_u32 v1, s2, v1, v57
	s_delay_alu instid0(VALU_DEP_1) | instskip(NEXT) | instid1(VALU_DEP_2)
	v_add_co_ci_u32_e64 v2, s2, v2, v58, s2
	v_add_co_u32 v1, s2, v1, v59
	s_delay_alu instid0(VALU_DEP_1) | instskip(NEXT) | instid1(VALU_DEP_2)
	v_add_co_ci_u32_e64 v2, s2, v2, v60, s2
	;; [unrolled: 3-line block ×13, first 2 shown]
	v_add_co_u32 v17, s2, v1, v35
	s_delay_alu instid0(VALU_DEP_1)
	v_add_co_ci_u32_e64 v18, s2, v2, v36, s2
	ds_store_b64 v3, v[17:18]
	s_waitcnt lgkmcnt(0)
	s_barrier
	buffer_gl0_inv
	s_and_saveexec_b32 s3, vcc_lo
	s_cbranch_execz .LBB19_32
; %bb.23:
	v_lshlrev_b32_e32 v1, 1, v0
	v_mbcnt_lo_u32_b32 v24, -1, 0
	s_mov_b32 s12, exec_lo
	s_delay_alu instid0(VALU_DEP_2) | instskip(NEXT) | instid1(VALU_DEP_2)
	v_and_b32_e32 v1, 0x1f8, v1
	v_and_b32_e32 v25, 15, v24
	s_delay_alu instid0(VALU_DEP_2)
	v_lshl_or_b32 v23, v0, 6, v1
	ds_load_2addr_b64 v[1:4], v23 offset1:1
	ds_load_2addr_b64 v[5:8], v23 offset0:2 offset1:3
	ds_load_2addr_b64 v[9:12], v23 offset0:4 offset1:5
	;; [unrolled: 1-line block ×3, first 2 shown]
	s_waitcnt lgkmcnt(3)
	v_add_co_u32 v19, s2, v3, v1
	s_delay_alu instid0(VALU_DEP_1) | instskip(SKIP_1) | instid1(VALU_DEP_2)
	v_add_co_ci_u32_e64 v20, s2, v4, v2, s2
	s_waitcnt lgkmcnt(2)
	v_add_co_u32 v19, s2, v19, v5
	s_delay_alu instid0(VALU_DEP_1) | instskip(NEXT) | instid1(VALU_DEP_2)
	v_add_co_ci_u32_e64 v20, s2, v20, v6, s2
	v_add_co_u32 v19, s2, v19, v7
	s_delay_alu instid0(VALU_DEP_1) | instskip(SKIP_1) | instid1(VALU_DEP_2)
	v_add_co_ci_u32_e64 v20, s2, v20, v8, s2
	s_waitcnt lgkmcnt(1)
	v_add_co_u32 v19, s2, v19, v9
	s_delay_alu instid0(VALU_DEP_1) | instskip(NEXT) | instid1(VALU_DEP_2)
	v_add_co_ci_u32_e64 v20, s2, v20, v10, s2
	;; [unrolled: 7-line block ×3, first 2 shown]
	v_add_co_u32 v19, s2, v19, v15
	s_delay_alu instid0(VALU_DEP_1) | instskip(NEXT) | instid1(VALU_DEP_2)
	v_add_co_ci_u32_e64 v20, s2, v20, v16, s2
	v_mov_b32_dpp v27, v19 row_shr:1 row_mask:0xf bank_mask:0xf
	s_delay_alu instid0(VALU_DEP_2)
	v_mov_b32_e32 v22, v20
	v_mov_b32_dpp v26, v20 row_shr:1 row_mask:0xf bank_mask:0xf
	v_mov_b32_e32 v21, v19
	v_cmpx_ne_u32_e32 0, v25
; %bb.24:
	v_add_co_u32 v19, s2, v19, v27
	s_delay_alu instid0(VALU_DEP_1) | instskip(NEXT) | instid1(VALU_DEP_2)
	v_add_co_ci_u32_e64 v20, s2, 0, v20, s2
	v_add_co_u32 v21, s2, 0, v19
	s_delay_alu instid0(VALU_DEP_1) | instskip(NEXT) | instid1(VALU_DEP_1)
	v_add_co_ci_u32_e64 v22, s2, v26, v20, s2
	v_mov_b32_e32 v20, v22
; %bb.25:
	s_or_b32 exec_lo, exec_lo, s12
	v_mov_b32_dpp v27, v19 row_shr:2 row_mask:0xf bank_mask:0xf
	s_delay_alu instid0(VALU_DEP_2)
	v_mov_b32_dpp v26, v20 row_shr:2 row_mask:0xf bank_mask:0xf
	s_mov_b32 s12, exec_lo
	v_cmpx_lt_u32_e32 1, v25
; %bb.26:
	s_delay_alu instid0(VALU_DEP_3) | instskip(NEXT) | instid1(VALU_DEP_1)
	v_add_co_u32 v19, s2, v21, v27
	v_add_co_ci_u32_e64 v20, s2, 0, v22, s2
	s_delay_alu instid0(VALU_DEP_2) | instskip(NEXT) | instid1(VALU_DEP_1)
	v_add_co_u32 v21, s2, 0, v19
	v_add_co_ci_u32_e64 v22, s2, v26, v20, s2
	s_delay_alu instid0(VALU_DEP_1)
	v_mov_b32_e32 v20, v22
; %bb.27:
	s_or_b32 exec_lo, exec_lo, s12
	v_mov_b32_dpp v27, v19 row_shr:4 row_mask:0xf bank_mask:0xf
	s_delay_alu instid0(VALU_DEP_2)
	v_mov_b32_dpp v26, v20 row_shr:4 row_mask:0xf bank_mask:0xf
	s_mov_b32 s12, exec_lo
	v_cmpx_lt_u32_e32 3, v25
; %bb.28:
	s_delay_alu instid0(VALU_DEP_3) | instskip(NEXT) | instid1(VALU_DEP_1)
	v_add_co_u32 v19, s2, v21, v27
	v_add_co_ci_u32_e64 v20, s2, 0, v22, s2
	s_delay_alu instid0(VALU_DEP_2) | instskip(NEXT) | instid1(VALU_DEP_1)
	v_add_co_u32 v21, s2, 0, v19
	v_add_co_ci_u32_e64 v22, s2, v26, v20, s2
	s_delay_alu instid0(VALU_DEP_1)
	;; [unrolled: 16-line block ×3, first 2 shown]
	v_mov_b32_e32 v20, v22
; %bb.31:
	s_or_b32 exec_lo, exec_lo, s12
	ds_swizzle_b32 v25, v19 offset:swizzle(BROADCAST,32,15)
	ds_swizzle_b32 v26, v20 offset:swizzle(BROADCAST,32,15)
	v_add_nc_u32_e32 v27, -1, v24
	v_and_b32_e32 v28, 16, v24
	s_delay_alu instid0(VALU_DEP_2) | instskip(NEXT) | instid1(VALU_DEP_1)
	v_cmp_gt_i32_e64 s2, 0, v27
	v_cndmask_b32_e64 v24, v27, v24, s2
	s_delay_alu instid0(VALU_DEP_1) | instskip(SKIP_2) | instid1(VALU_DEP_1)
	v_lshlrev_b32_e32 v24, 2, v24
	s_waitcnt lgkmcnt(1)
	v_add_co_u32 v21, s2, v21, v25
	v_add_co_ci_u32_e64 v22, s2, 0, v22, s2
	v_cmp_eq_u32_e64 s2, 0, v28
	s_delay_alu instid0(VALU_DEP_1) | instskip(SKIP_1) | instid1(VALU_DEP_3)
	v_cndmask_b32_e64 v19, v21, v19, s2
	s_waitcnt lgkmcnt(0)
	v_add_nc_u32_e32 v21, v26, v22
	ds_bpermute_b32 v19, v24, v19
	v_cndmask_b32_e64 v20, v21, v20, s2
	ds_bpermute_b32 v20, v24, v20
	s_waitcnt lgkmcnt(1)
	v_add_co_u32 v1, s2, v1, v19
	s_delay_alu instid0(VALU_DEP_1) | instskip(NEXT) | instid1(VALU_DEP_2)
	v_add_co_ci_u32_e64 v2, s2, 0, v2, s2
	v_add_co_u32 v1, s2, v1, 0
	s_waitcnt lgkmcnt(0)
	s_delay_alu instid0(VALU_DEP_2) | instskip(SKIP_1) | instid1(VALU_DEP_1)
	v_add_co_ci_u32_e64 v2, s2, v2, v20, s2
	v_cmp_eq_u32_e64 s2, 0, v0
	v_cndmask_b32_e64 v1, v1, v17, s2
	s_delay_alu instid0(VALU_DEP_3) | instskip(NEXT) | instid1(VALU_DEP_2)
	v_cndmask_b32_e64 v2, v2, v18, s2
	v_add_co_u32 v3, s2, v1, v3
	s_delay_alu instid0(VALU_DEP_1) | instskip(NEXT) | instid1(VALU_DEP_2)
	v_add_co_ci_u32_e64 v4, s2, v2, v4, s2
	v_add_co_u32 v5, s2, v3, v5
	s_delay_alu instid0(VALU_DEP_1) | instskip(NEXT) | instid1(VALU_DEP_2)
	v_add_co_ci_u32_e64 v6, s2, v4, v6, s2
	;; [unrolled: 3-line block ×6, first 2 shown]
	v_add_co_u32 v15, s2, v13, v15
	s_delay_alu instid0(VALU_DEP_1)
	v_add_co_ci_u32_e64 v16, s2, v14, v16, s2
	ds_store_2addr_b64 v23, v[1:2], v[3:4] offset1:1
	ds_store_2addr_b64 v23, v[5:6], v[7:8] offset0:2 offset1:3
	ds_store_2addr_b64 v23, v[9:10], v[11:12] offset0:4 offset1:5
	;; [unrolled: 1-line block ×3, first 2 shown]
.LBB19_32:
	s_or_b32 exec_lo, exec_lo, s3
	v_mov_b32_e32 v7, 0
	v_cmp_eq_u32_e64 s2, 0, v0
	v_mov_b32_e32 v8, 0
	s_mov_b32 s12, exec_lo
	s_waitcnt lgkmcnt(0)
	s_barrier
	buffer_gl0_inv
	v_cmpx_ne_u32_e32 0, v0
	s_cbranch_execz .LBB19_34
; %bb.33:
	v_add_nc_u32_e32 v1, -1, v0
	s_delay_alu instid0(VALU_DEP_1) | instskip(NEXT) | instid1(VALU_DEP_1)
	v_lshrrev_b32_e32 v2, 5, v1
	v_add_lshl_u32 v1, v2, v1, 3
	ds_load_b64 v[7:8], v1
.LBB19_34:
	s_or_b32 exec_lo, exec_lo, s12
	s_and_saveexec_b32 s14, vcc_lo
	s_cbranch_execz .LBB19_73
; %bb.35:
	v_mov_b32_e32 v4, 0
	v_mbcnt_lo_u32_b32 v12, -1, 0
	s_mov_b32 s13, 0
	ds_load_b64 v[1:2], v4 offset:2096
	v_cmp_eq_u32_e64 s3, 0, v12
	s_delay_alu instid0(VALU_DEP_1)
	s_and_saveexec_b32 s21, s3
	s_cbranch_execz .LBB19_37
; %bb.36:
	s_add_i32 s12, s15, 32
	s_delay_alu instid0(SALU_CYCLE_1) | instskip(NEXT) | instid1(SALU_CYCLE_1)
	s_lshl_b64 s[12:13], s[12:13], 4
	s_add_u32 s12, s16, s12
	s_addc_u32 s13, s17, s13
	v_mov_b32_e32 v5, s12
	v_dual_mov_b32 v3, 1 :: v_dual_mov_b32 v6, s13
	s_waitcnt lgkmcnt(0)
	;;#ASMSTART
	global_store_dwordx4 v[5:6], v[1:4] off	
s_waitcnt vmcnt(0)
	;;#ASMEND
.LBB19_37:
	s_or_b32 exec_lo, exec_lo, s21
	v_xad_u32 v9, v12, -1, s15
	s_mov_b32 s12, exec_lo
	s_delay_alu instid0(VALU_DEP_1) | instskip(NEXT) | instid1(VALU_DEP_1)
	v_add_nc_u32_e32 v3, 32, v9
	v_lshlrev_b64 v[3:4], 4, v[3:4]
	s_delay_alu instid0(VALU_DEP_1) | instskip(NEXT) | instid1(VALU_DEP_2)
	v_add_co_u32 v10, vcc_lo, s16, v3
	v_add_co_ci_u32_e32 v11, vcc_lo, s17, v4, vcc_lo
	;;#ASMSTART
	global_load_dwordx4 v[3:6], v[10:11] off glc	
s_waitcnt vmcnt(0)
	;;#ASMEND
	v_and_b32_e32 v6, 0xff, v5
	s_delay_alu instid0(VALU_DEP_1)
	v_cmpx_eq_u16_e32 0, v6
	s_cbranch_execz .LBB19_41
; %bb.38:
	s_mov_b32 s13, 0
.LBB19_39:                              ; =>This Inner Loop Header: Depth=1
	;;#ASMSTART
	global_load_dwordx4 v[3:6], v[10:11] off glc	
s_waitcnt vmcnt(0)
	;;#ASMEND
	v_and_b32_e32 v6, 0xff, v5
	s_delay_alu instid0(VALU_DEP_1) | instskip(SKIP_1) | instid1(SALU_CYCLE_1)
	v_cmp_ne_u16_e32 vcc_lo, 0, v6
	s_or_b32 s13, vcc_lo, s13
	s_and_not1_b32 exec_lo, exec_lo, s13
	s_cbranch_execnz .LBB19_39
; %bb.40:
	s_or_b32 exec_lo, exec_lo, s13
.LBB19_41:
	s_delay_alu instid0(SALU_CYCLE_1)
	s_or_b32 exec_lo, exec_lo, s12
	v_cmp_ne_u32_e32 vcc_lo, 31, v12
	v_and_b32_e32 v10, 0xff, v5
	v_lshlrev_b32_e64 v16, v12, -1
	v_add_nc_u32_e32 v17, 1, v12
	s_mov_b32 s12, exec_lo
	v_add_co_ci_u32_e32 v6, vcc_lo, 0, v12, vcc_lo
	v_cmp_eq_u16_e32 vcc_lo, 2, v10
	s_delay_alu instid0(VALU_DEP_2) | instskip(SKIP_4) | instid1(VALU_DEP_1)
	v_dual_mov_b32 v10, v3 :: v_dual_lshlrev_b32 v15, 2, v6
	v_and_or_b32 v6, vcc_lo, v16, 0x80000000
	ds_bpermute_b32 v13, v15, v3
	ds_bpermute_b32 v11, v15, v4
	v_ctz_i32_b32_e32 v6, v6
	v_cmpx_le_u32_e64 v17, v6
	s_cbranch_execz .LBB19_43
; %bb.42:
	s_waitcnt lgkmcnt(1)
	v_add_co_u32 v10, vcc_lo, v3, v13
	v_add_co_ci_u32_e32 v4, vcc_lo, 0, v4, vcc_lo
	s_delay_alu instid0(VALU_DEP_2) | instskip(SKIP_1) | instid1(VALU_DEP_2)
	v_add_co_u32 v3, vcc_lo, 0, v10
	s_waitcnt lgkmcnt(0)
	v_add_co_ci_u32_e32 v4, vcc_lo, v11, v4, vcc_lo
.LBB19_43:
	s_or_b32 exec_lo, exec_lo, s12
	v_cmp_gt_u32_e32 vcc_lo, 30, v12
	v_add_nc_u32_e32 v19, 2, v12
	s_mov_b32 s12, exec_lo
	s_waitcnt lgkmcnt(0)
	v_cndmask_b32_e64 v11, 0, 1, vcc_lo
	s_delay_alu instid0(VALU_DEP_1) | instskip(NEXT) | instid1(VALU_DEP_1)
	v_lshlrev_b32_e32 v11, 1, v11
	v_add_lshl_u32 v18, v11, v12, 2
	ds_bpermute_b32 v13, v18, v10
	ds_bpermute_b32 v11, v18, v4
	v_cmpx_le_u32_e64 v19, v6
	s_cbranch_execz .LBB19_45
; %bb.44:
	s_waitcnt lgkmcnt(1)
	v_add_co_u32 v10, vcc_lo, v3, v13
	v_add_co_ci_u32_e32 v4, vcc_lo, 0, v4, vcc_lo
	s_delay_alu instid0(VALU_DEP_2) | instskip(SKIP_1) | instid1(VALU_DEP_2)
	v_add_co_u32 v3, vcc_lo, 0, v10
	s_waitcnt lgkmcnt(0)
	v_add_co_ci_u32_e32 v4, vcc_lo, v11, v4, vcc_lo
.LBB19_45:
	s_or_b32 exec_lo, exec_lo, s12
	v_cmp_gt_u32_e32 vcc_lo, 28, v12
	v_add_nc_u32_e32 v21, 4, v12
	s_mov_b32 s12, exec_lo
	s_waitcnt lgkmcnt(0)
	v_cndmask_b32_e64 v11, 0, 1, vcc_lo
	s_delay_alu instid0(VALU_DEP_1) | instskip(NEXT) | instid1(VALU_DEP_1)
	v_lshlrev_b32_e32 v11, 2, v11
	v_add_lshl_u32 v20, v11, v12, 2
	ds_bpermute_b32 v13, v20, v10
	ds_bpermute_b32 v11, v20, v4
	;; [unrolled: 22-line block ×4, first 2 shown]
	v_cmpx_le_u32_e64 v25, v6
	s_cbranch_execz .LBB19_51
; %bb.50:
	s_waitcnt lgkmcnt(1)
	v_add_co_u32 v3, vcc_lo, v3, v11
	v_add_co_ci_u32_e32 v4, vcc_lo, 0, v4, vcc_lo
	s_delay_alu instid0(VALU_DEP_2) | instskip(SKIP_1) | instid1(VALU_DEP_2)
	v_add_co_u32 v3, vcc_lo, v3, 0
	s_waitcnt lgkmcnt(0)
	v_add_co_ci_u32_e32 v4, vcc_lo, v4, v10, vcc_lo
.LBB19_51:
	s_or_b32 exec_lo, exec_lo, s12
	s_waitcnt lgkmcnt(0)
	v_mov_b32_e32 v10, 0
	s_branch .LBB19_53
.LBB19_52:                              ;   in Loop: Header=BB19_53 Depth=1
	s_or_b32 exec_lo, exec_lo, s12
	v_add_co_u32 v3, vcc_lo, v3, v11
	v_subrev_nc_u32_e32 v9, 32, v9
	v_add_co_ci_u32_e32 v4, vcc_lo, v4, v12, vcc_lo
.LBB19_53:                              ; =>This Loop Header: Depth=1
                                        ;     Child Loop BB19_56 Depth 2
	s_delay_alu instid0(VALU_DEP_1) | instskip(NEXT) | instid1(VALU_DEP_4)
	v_dual_mov_b32 v12, v4 :: v_dual_and_b32 v5, 0xff, v5
	v_mov_b32_e32 v11, v3
	s_delay_alu instid0(VALU_DEP_2) | instskip(SKIP_2) | instid1(VALU_DEP_1)
	v_cmp_ne_u16_e32 vcc_lo, 2, v5
	v_cndmask_b32_e64 v5, 0, 1, vcc_lo
	;;#ASMSTART
	;;#ASMEND
	v_cmp_ne_u32_e32 vcc_lo, 0, v5
	s_cmp_lg_u32 vcc_lo, exec_lo
	s_cbranch_scc1 .LBB19_68
; %bb.54:                               ;   in Loop: Header=BB19_53 Depth=1
	v_lshlrev_b64 v[3:4], 4, v[9:10]
	s_mov_b32 s12, exec_lo
	s_waitcnt lgkmcnt(0)
	s_delay_alu instid0(VALU_DEP_1) | instskip(NEXT) | instid1(VALU_DEP_2)
	v_add_co_u32 v13, vcc_lo, s16, v3
	v_add_co_ci_u32_e32 v14, vcc_lo, s17, v4, vcc_lo
	;;#ASMSTART
	global_load_dwordx4 v[3:6], v[13:14] off glc	
s_waitcnt vmcnt(0)
	;;#ASMEND
	v_and_b32_e32 v6, 0xff, v5
	s_delay_alu instid0(VALU_DEP_1)
	v_cmpx_eq_u16_e32 0, v6
	s_cbranch_execz .LBB19_58
; %bb.55:                               ;   in Loop: Header=BB19_53 Depth=1
	s_mov_b32 s13, 0
.LBB19_56:                              ;   Parent Loop BB19_53 Depth=1
                                        ; =>  This Inner Loop Header: Depth=2
	;;#ASMSTART
	global_load_dwordx4 v[3:6], v[13:14] off glc	
s_waitcnt vmcnt(0)
	;;#ASMEND
	v_and_b32_e32 v6, 0xff, v5
	s_delay_alu instid0(VALU_DEP_1) | instskip(SKIP_1) | instid1(SALU_CYCLE_1)
	v_cmp_ne_u16_e32 vcc_lo, 0, v6
	s_or_b32 s13, vcc_lo, s13
	s_and_not1_b32 exec_lo, exec_lo, s13
	s_cbranch_execnz .LBB19_56
; %bb.57:                               ;   in Loop: Header=BB19_53 Depth=1
	s_or_b32 exec_lo, exec_lo, s13
.LBB19_58:                              ;   in Loop: Header=BB19_53 Depth=1
	s_delay_alu instid0(SALU_CYCLE_1)
	s_or_b32 exec_lo, exec_lo, s12
	v_dual_mov_b32 v13, v3 :: v_dual_and_b32 v6, 0xff, v5
	ds_bpermute_b32 v26, v15, v3
	ds_bpermute_b32 v14, v15, v4
	s_mov_b32 s12, exec_lo
	v_cmp_eq_u16_e32 vcc_lo, 2, v6
	v_and_or_b32 v6, vcc_lo, v16, 0x80000000
	s_delay_alu instid0(VALU_DEP_1) | instskip(NEXT) | instid1(VALU_DEP_1)
	v_ctz_i32_b32_e32 v6, v6
	v_cmpx_le_u32_e64 v17, v6
	s_cbranch_execz .LBB19_60
; %bb.59:                               ;   in Loop: Header=BB19_53 Depth=1
	s_waitcnt lgkmcnt(1)
	v_add_co_u32 v13, vcc_lo, v3, v26
	v_add_co_ci_u32_e32 v4, vcc_lo, 0, v4, vcc_lo
	s_delay_alu instid0(VALU_DEP_2) | instskip(SKIP_1) | instid1(VALU_DEP_2)
	v_add_co_u32 v3, vcc_lo, 0, v13
	s_waitcnt lgkmcnt(0)
	v_add_co_ci_u32_e32 v4, vcc_lo, v14, v4, vcc_lo
.LBB19_60:                              ;   in Loop: Header=BB19_53 Depth=1
	s_or_b32 exec_lo, exec_lo, s12
	s_waitcnt lgkmcnt(1)
	ds_bpermute_b32 v26, v18, v13
	s_waitcnt lgkmcnt(1)
	ds_bpermute_b32 v14, v18, v4
	s_mov_b32 s12, exec_lo
	v_cmpx_le_u32_e64 v19, v6
	s_cbranch_execz .LBB19_62
; %bb.61:                               ;   in Loop: Header=BB19_53 Depth=1
	s_waitcnt lgkmcnt(1)
	v_add_co_u32 v13, vcc_lo, v3, v26
	v_add_co_ci_u32_e32 v4, vcc_lo, 0, v4, vcc_lo
	s_delay_alu instid0(VALU_DEP_2) | instskip(SKIP_1) | instid1(VALU_DEP_2)
	v_add_co_u32 v3, vcc_lo, 0, v13
	s_waitcnt lgkmcnt(0)
	v_add_co_ci_u32_e32 v4, vcc_lo, v14, v4, vcc_lo
.LBB19_62:                              ;   in Loop: Header=BB19_53 Depth=1
	s_or_b32 exec_lo, exec_lo, s12
	s_waitcnt lgkmcnt(1)
	ds_bpermute_b32 v26, v20, v13
	s_waitcnt lgkmcnt(1)
	ds_bpermute_b32 v14, v20, v4
	s_mov_b32 s12, exec_lo
	;; [unrolled: 17-line block ×3, first 2 shown]
	v_cmpx_le_u32_e64 v23, v6
	s_cbranch_execz .LBB19_66
; %bb.65:                               ;   in Loop: Header=BB19_53 Depth=1
	s_waitcnt lgkmcnt(1)
	v_add_co_u32 v13, vcc_lo, v3, v26
	v_add_co_ci_u32_e32 v4, vcc_lo, 0, v4, vcc_lo
	s_delay_alu instid0(VALU_DEP_2) | instskip(SKIP_1) | instid1(VALU_DEP_2)
	v_add_co_u32 v3, vcc_lo, 0, v13
	s_waitcnt lgkmcnt(0)
	v_add_co_ci_u32_e32 v4, vcc_lo, v14, v4, vcc_lo
.LBB19_66:                              ;   in Loop: Header=BB19_53 Depth=1
	s_or_b32 exec_lo, exec_lo, s12
	s_waitcnt lgkmcnt(0)
	ds_bpermute_b32 v14, v24, v13
	ds_bpermute_b32 v13, v24, v4
	s_mov_b32 s12, exec_lo
	v_cmpx_le_u32_e64 v25, v6
	s_cbranch_execz .LBB19_52
; %bb.67:                               ;   in Loop: Header=BB19_53 Depth=1
	s_waitcnt lgkmcnt(1)
	v_add_co_u32 v3, vcc_lo, v3, v14
	v_add_co_ci_u32_e32 v4, vcc_lo, 0, v4, vcc_lo
	s_delay_alu instid0(VALU_DEP_2) | instskip(SKIP_1) | instid1(VALU_DEP_2)
	v_add_co_u32 v3, vcc_lo, v3, 0
	s_waitcnt lgkmcnt(0)
	v_add_co_ci_u32_e32 v4, vcc_lo, v4, v13, vcc_lo
	s_branch .LBB19_52
.LBB19_68:                              ;   in Loop: Header=BB19_53 Depth=1
                                        ; implicit-def: $vgpr3_vgpr4
	s_cbranch_execz .LBB19_53
; %bb.69:
	s_and_saveexec_b32 s12, s3
	s_cbranch_execz .LBB19_71
; %bb.70:
	s_add_i32 s22, s15, 32
	s_mov_b32 s23, 0
	v_add_co_u32 v1, vcc_lo, v11, v1
	s_lshl_b64 s[22:23], s[22:23], 4
	v_add_co_ci_u32_e32 v2, vcc_lo, v12, v2, vcc_lo
	s_add_u32 s22, s16, s22
	s_addc_u32 s23, s17, s23
	v_dual_mov_b32 v3, 2 :: v_dual_mov_b32 v4, 0
	v_dual_mov_b32 v5, s22 :: v_dual_mov_b32 v6, s23
	;;#ASMSTART
	global_store_dwordx4 v[5:6], v[1:4] off	
s_waitcnt vmcnt(0)
	;;#ASMEND
.LBB19_71:
	s_or_b32 exec_lo, exec_lo, s12
	s_delay_alu instid0(SALU_CYCLE_1)
	s_and_b32 exec_lo, exec_lo, s2
	s_cbranch_execz .LBB19_73
; %bb.72:
	v_mov_b32_e32 v1, 0
	ds_store_b64 v1, v[11:12]
.LBB19_73:
	s_or_b32 exec_lo, exec_lo, s14
	v_mov_b32_e32 v1, 0
	s_waitcnt lgkmcnt(0)
	s_barrier
	buffer_gl0_inv
	ds_load_b64 v[1:2], v1
	s_waitcnt lgkmcnt(0)
	v_add_co_u32 v1, vcc_lo, v1, v7
	v_add_co_ci_u32_e32 v2, vcc_lo, v2, v8, vcc_lo
	s_delay_alu instid0(VALU_DEP_2) | instskip(NEXT) | instid1(VALU_DEP_2)
	v_add_co_u32 v3, vcc_lo, v1, v61
	v_add_co_ci_u32_e32 v4, vcc_lo, v2, v62, vcc_lo
	s_delay_alu instid0(VALU_DEP_2) | instskip(NEXT) | instid1(VALU_DEP_2)
	;; [unrolled: 3-line block ×15, first 2 shown]
	v_add_co_u32 v31, vcc_lo, v29, v33
	v_add_co_ci_u32_e32 v32, vcc_lo, v30, v34, vcc_lo
	s_load_b128 s[12:15], s[0:1], 0x38
	s_branch .LBB19_92
.LBB19_74:
                                        ; implicit-def: $vgpr1_vgpr2_vgpr3_vgpr4_vgpr5_vgpr6_vgpr7_vgpr8_vgpr9_vgpr10_vgpr11_vgpr12_vgpr13_vgpr14_vgpr15_vgpr16_vgpr17_vgpr18_vgpr19_vgpr20_vgpr21_vgpr22_vgpr23_vgpr24_vgpr25_vgpr26_vgpr27_vgpr28_vgpr29_vgpr30_vgpr31_vgpr32
	s_load_b128 s[12:15], s[0:1], 0x38
	s_cbranch_execz .LBB19_92
; %bb.75:
	s_load_b32 s2, s[0:1], 0x48
	s_waitcnt lgkmcnt(0)
	s_bitcmp0_b32 s2, 0
	s_cbranch_scc1 .LBB19_77
; %bb.76:
	s_add_u32 s2, s4, -8
	s_addc_u32 s3, s5, -1
	s_load_b64 s[4:5], s[12:13], 0x0
	s_load_b64 s[2:3], s[2:3], 0x0
	s_waitcnt lgkmcnt(0)
	s_add_u32 s10, s2, s4
	s_addc_u32 s11, s3, s5
.LBB19_77:
	v_add_co_u32 v1, vcc_lo, v63, v61
	v_add_co_ci_u32_e32 v2, vcc_lo, v64, v62, vcc_lo
	v_add_lshl_u32 v3, v81, v0, 3
	s_delay_alu instid0(VALU_DEP_3) | instskip(NEXT) | instid1(VALU_DEP_3)
	v_add_co_u32 v1, vcc_lo, v1, v57
	v_add_co_ci_u32_e32 v2, vcc_lo, v2, v58, vcc_lo
	s_mov_b32 s2, exec_lo
	s_delay_alu instid0(VALU_DEP_2) | instskip(NEXT) | instid1(VALU_DEP_2)
	v_add_co_u32 v1, vcc_lo, v1, v59
	v_add_co_ci_u32_e32 v2, vcc_lo, v2, v60, vcc_lo
	s_delay_alu instid0(VALU_DEP_2) | instskip(NEXT) | instid1(VALU_DEP_2)
	v_add_co_u32 v1, vcc_lo, v1, v53
	v_add_co_ci_u32_e32 v2, vcc_lo, v2, v54, vcc_lo
	;; [unrolled: 3-line block ×13, first 2 shown]
	ds_store_b64 v3, v[17:18]
	s_waitcnt lgkmcnt(0)
	s_barrier
	buffer_gl0_inv
	v_cmpx_gt_u32_e32 32, v0
	s_cbranch_execz .LBB19_87
; %bb.78:
	v_lshlrev_b32_e32 v1, 1, v0
	v_mbcnt_lo_u32_b32 v24, -1, 0
	s_mov_b32 s3, exec_lo
	s_delay_alu instid0(VALU_DEP_2) | instskip(NEXT) | instid1(VALU_DEP_2)
	v_and_b32_e32 v1, 0x1f8, v1
	v_and_b32_e32 v25, 15, v24
	s_delay_alu instid0(VALU_DEP_2)
	v_lshl_or_b32 v23, v0, 6, v1
	ds_load_2addr_b64 v[1:4], v23 offset1:1
	ds_load_2addr_b64 v[5:8], v23 offset0:2 offset1:3
	ds_load_2addr_b64 v[9:12], v23 offset0:4 offset1:5
	;; [unrolled: 1-line block ×3, first 2 shown]
	s_waitcnt lgkmcnt(3)
	v_add_co_u32 v19, vcc_lo, v3, v1
	v_add_co_ci_u32_e32 v20, vcc_lo, v4, v2, vcc_lo
	s_waitcnt lgkmcnt(2)
	s_delay_alu instid0(VALU_DEP_2) | instskip(NEXT) | instid1(VALU_DEP_2)
	v_add_co_u32 v19, vcc_lo, v19, v5
	v_add_co_ci_u32_e32 v20, vcc_lo, v20, v6, vcc_lo
	s_delay_alu instid0(VALU_DEP_2) | instskip(NEXT) | instid1(VALU_DEP_2)
	v_add_co_u32 v19, vcc_lo, v19, v7
	v_add_co_ci_u32_e32 v20, vcc_lo, v20, v8, vcc_lo
	s_waitcnt lgkmcnt(1)
	s_delay_alu instid0(VALU_DEP_2) | instskip(NEXT) | instid1(VALU_DEP_2)
	v_add_co_u32 v19, vcc_lo, v19, v9
	v_add_co_ci_u32_e32 v20, vcc_lo, v20, v10, vcc_lo
	s_delay_alu instid0(VALU_DEP_2) | instskip(NEXT) | instid1(VALU_DEP_2)
	;; [unrolled: 7-line block ×3, first 2 shown]
	v_add_co_u32 v19, vcc_lo, v19, v15
	v_add_co_ci_u32_e32 v20, vcc_lo, v20, v16, vcc_lo
	s_delay_alu instid0(VALU_DEP_2) | instskip(NEXT) | instid1(VALU_DEP_2)
	v_mov_b32_dpp v27, v19 row_shr:1 row_mask:0xf bank_mask:0xf
	v_mov_b32_e32 v22, v20
	v_mov_b32_dpp v26, v20 row_shr:1 row_mask:0xf bank_mask:0xf
	v_mov_b32_e32 v21, v19
	v_cmpx_ne_u32_e32 0, v25
; %bb.79:
	v_add_co_u32 v19, vcc_lo, v19, v27
	v_add_co_ci_u32_e32 v20, vcc_lo, 0, v20, vcc_lo
	s_delay_alu instid0(VALU_DEP_2) | instskip(NEXT) | instid1(VALU_DEP_2)
	v_add_co_u32 v21, vcc_lo, 0, v19
	v_add_co_ci_u32_e32 v22, vcc_lo, v26, v20, vcc_lo
	s_delay_alu instid0(VALU_DEP_1)
	v_mov_b32_e32 v20, v22
; %bb.80:
	s_or_b32 exec_lo, exec_lo, s3
	v_mov_b32_dpp v27, v19 row_shr:2 row_mask:0xf bank_mask:0xf
	s_delay_alu instid0(VALU_DEP_2)
	v_mov_b32_dpp v26, v20 row_shr:2 row_mask:0xf bank_mask:0xf
	s_mov_b32 s3, exec_lo
	v_cmpx_lt_u32_e32 1, v25
; %bb.81:
	s_delay_alu instid0(VALU_DEP_3) | instskip(SKIP_1) | instid1(VALU_DEP_2)
	v_add_co_u32 v19, vcc_lo, v21, v27
	v_add_co_ci_u32_e32 v20, vcc_lo, 0, v22, vcc_lo
	v_add_co_u32 v21, vcc_lo, 0, v19
	s_delay_alu instid0(VALU_DEP_2) | instskip(NEXT) | instid1(VALU_DEP_1)
	v_add_co_ci_u32_e32 v22, vcc_lo, v26, v20, vcc_lo
	v_mov_b32_e32 v20, v22
; %bb.82:
	s_or_b32 exec_lo, exec_lo, s3
	v_mov_b32_dpp v27, v19 row_shr:4 row_mask:0xf bank_mask:0xf
	s_delay_alu instid0(VALU_DEP_2)
	v_mov_b32_dpp v26, v20 row_shr:4 row_mask:0xf bank_mask:0xf
	s_mov_b32 s3, exec_lo
	v_cmpx_lt_u32_e32 3, v25
; %bb.83:
	s_delay_alu instid0(VALU_DEP_3) | instskip(SKIP_1) | instid1(VALU_DEP_2)
	v_add_co_u32 v19, vcc_lo, v21, v27
	v_add_co_ci_u32_e32 v20, vcc_lo, 0, v22, vcc_lo
	v_add_co_u32 v21, vcc_lo, 0, v19
	s_delay_alu instid0(VALU_DEP_2) | instskip(NEXT) | instid1(VALU_DEP_1)
	v_add_co_ci_u32_e32 v22, vcc_lo, v26, v20, vcc_lo
	v_mov_b32_e32 v20, v22
; %bb.84:
	s_or_b32 exec_lo, exec_lo, s3
	v_mov_b32_dpp v27, v19 row_shr:8 row_mask:0xf bank_mask:0xf
	s_delay_alu instid0(VALU_DEP_2)
	v_mov_b32_dpp v26, v20 row_shr:8 row_mask:0xf bank_mask:0xf
	s_mov_b32 s3, exec_lo
	v_cmpx_lt_u32_e32 7, v25
; %bb.85:
	s_delay_alu instid0(VALU_DEP_3) | instskip(SKIP_1) | instid1(VALU_DEP_2)
	v_add_co_u32 v19, vcc_lo, v21, v27
	v_add_co_ci_u32_e32 v20, vcc_lo, 0, v22, vcc_lo
	v_add_co_u32 v21, vcc_lo, 0, v19
	s_delay_alu instid0(VALU_DEP_2) | instskip(NEXT) | instid1(VALU_DEP_1)
	v_add_co_ci_u32_e32 v22, vcc_lo, v26, v20, vcc_lo
	v_mov_b32_e32 v20, v22
; %bb.86:
	s_or_b32 exec_lo, exec_lo, s3
	ds_swizzle_b32 v25, v19 offset:swizzle(BROADCAST,32,15)
	ds_swizzle_b32 v26, v20 offset:swizzle(BROADCAST,32,15)
	v_add_nc_u32_e32 v27, -1, v24
	v_and_b32_e32 v28, 16, v24
	s_delay_alu instid0(VALU_DEP_2)
	v_cmp_gt_i32_e32 vcc_lo, 0, v27
	v_cndmask_b32_e32 v24, v27, v24, vcc_lo
	s_waitcnt lgkmcnt(1)
	v_add_co_u32 v21, vcc_lo, v21, v25
	v_add_co_ci_u32_e32 v22, vcc_lo, 0, v22, vcc_lo
	v_cmp_eq_u32_e32 vcc_lo, 0, v28
	s_delay_alu instid0(VALU_DEP_3) | instskip(SKIP_1) | instid1(VALU_DEP_3)
	v_cndmask_b32_e32 v19, v21, v19, vcc_lo
	s_waitcnt lgkmcnt(0)
	v_add_nc_u32_e32 v21, v26, v22
	v_lshlrev_b32_e32 v24, 2, v24
	s_delay_alu instid0(VALU_DEP_2)
	v_cndmask_b32_e32 v20, v21, v20, vcc_lo
	ds_bpermute_b32 v19, v24, v19
	ds_bpermute_b32 v20, v24, v20
	s_waitcnt lgkmcnt(1)
	v_add_co_u32 v1, vcc_lo, v1, v19
	v_add_co_ci_u32_e32 v2, vcc_lo, 0, v2, vcc_lo
	s_delay_alu instid0(VALU_DEP_2) | instskip(SKIP_1) | instid1(VALU_DEP_2)
	v_add_co_u32 v1, vcc_lo, v1, 0
	s_waitcnt lgkmcnt(0)
	v_add_co_ci_u32_e32 v2, vcc_lo, v2, v20, vcc_lo
	v_cmp_eq_u32_e32 vcc_lo, 0, v0
	s_delay_alu instid0(VALU_DEP_2) | instskip(NEXT) | instid1(VALU_DEP_1)
	v_dual_cndmask_b32 v1, v1, v17 :: v_dual_cndmask_b32 v2, v2, v18
	v_add_co_u32 v3, vcc_lo, v1, v3
	s_delay_alu instid0(VALU_DEP_2) | instskip(NEXT) | instid1(VALU_DEP_2)
	v_add_co_ci_u32_e32 v4, vcc_lo, v2, v4, vcc_lo
	v_add_co_u32 v5, vcc_lo, v3, v5
	s_delay_alu instid0(VALU_DEP_2) | instskip(NEXT) | instid1(VALU_DEP_2)
	v_add_co_ci_u32_e32 v6, vcc_lo, v4, v6, vcc_lo
	;; [unrolled: 3-line block ×6, first 2 shown]
	v_add_co_u32 v15, vcc_lo, v13, v15
	s_delay_alu instid0(VALU_DEP_2)
	v_add_co_ci_u32_e32 v16, vcc_lo, v14, v16, vcc_lo
	ds_store_2addr_b64 v23, v[1:2], v[3:4] offset1:1
	ds_store_2addr_b64 v23, v[5:6], v[7:8] offset0:2 offset1:3
	ds_store_2addr_b64 v23, v[9:10], v[11:12] offset0:4 offset1:5
	;; [unrolled: 1-line block ×3, first 2 shown]
.LBB19_87:
	s_or_b32 exec_lo, exec_lo, s2
	v_cmp_eq_u32_e32 vcc_lo, 0, v0
	v_dual_mov_b32 v1, s10 :: v_dual_mov_b32 v2, s11
	s_mov_b32 s3, exec_lo
	s_waitcnt lgkmcnt(0)
	s_barrier
	buffer_gl0_inv
	v_cmpx_ne_u32_e32 0, v0
	s_cbranch_execz .LBB19_89
; %bb.88:
	v_add_nc_u32_e32 v1, -1, v0
	s_delay_alu instid0(VALU_DEP_1) | instskip(NEXT) | instid1(VALU_DEP_1)
	v_lshrrev_b32_e32 v2, 5, v1
	v_add_lshl_u32 v1, v2, v1, 3
	ds_load_b64 v[1:2], v1
	s_waitcnt lgkmcnt(0)
	v_add_co_u32 v1, s2, v1, s10
	s_delay_alu instid0(VALU_DEP_1)
	v_add_co_ci_u32_e64 v2, s2, s11, v2, s2
.LBB19_89:
	s_or_b32 exec_lo, exec_lo, s3
	s_delay_alu instid0(VALU_DEP_2) | instskip(NEXT) | instid1(VALU_DEP_1)
	v_add_co_u32 v3, s2, v1, v61
	v_add_co_ci_u32_e64 v4, s2, v2, v62, s2
	s_delay_alu instid0(VALU_DEP_2) | instskip(NEXT) | instid1(VALU_DEP_1)
	v_add_co_u32 v5, s2, v3, v63
	v_add_co_ci_u32_e64 v6, s2, v4, v64, s2
	;; [unrolled: 3-line block ×15, first 2 shown]
	s_and_saveexec_b32 s2, vcc_lo
	s_cbranch_execz .LBB19_91
; %bb.90:
	v_dual_mov_b32 v36, 0 :: v_dual_mov_b32 v35, 2
	s_add_u32 s4, s16, 0x200
	s_addc_u32 s5, s17, 0
	s_delay_alu instid0(SALU_CYCLE_1)
	v_dual_mov_b32 v38, s5 :: v_dual_mov_b32 v37, s4
	ds_load_b64 v[33:34], v36 offset:2096
	s_waitcnt lgkmcnt(0)
	v_add_co_u32 v33, vcc_lo, v33, s10
	v_add_co_ci_u32_e32 v34, vcc_lo, s11, v34, vcc_lo
	;;#ASMSTART
	global_store_dwordx4 v[37:38], v[33:36] off	
s_waitcnt vmcnt(0)
	;;#ASMEND
.LBB19_91:
	s_or_b32 exec_lo, exec_lo, s2
.LBB19_92:
	v_lshlrev_b32_e32 v33, 7, v0
	s_add_u32 s2, s6, s8
	s_addc_u32 s3, s7, s9
	s_and_b32 vcc_lo, exec_lo, s20
	s_mov_b32 s4, -1
	s_waitcnt lgkmcnt(0)
	s_barrier
	buffer_gl0_inv
	s_cbranch_vccz .LBB19_94
; %bb.93:
	v_lshl_add_u32 v34, v82, 3, v33
	v_lshrrev_b32_e32 v35, 5, v78
	v_lshrrev_b32_e32 v36, 5, v77
	v_add_lshl_u32 v37, v81, v0, 3
	v_lshrrev_b32_e32 v51, 5, v71
	ds_store_2addr_b64 v34, v[1:2], v[3:4] offset1:1
	ds_store_2addr_b64 v34, v[5:6], v[7:8] offset0:2 offset1:3
	ds_store_2addr_b64 v34, v[9:10], v[11:12] offset0:4 offset1:5
	;; [unrolled: 1-line block ×7, first 2 shown]
	v_lshrrev_b32_e32 v34, 5, v79
	v_add_lshl_u32 v39, v35, v0, 3
	v_add_lshl_u32 v40, v36, v0, 3
	s_waitcnt lgkmcnt(0)
	s_barrier
	v_add_lshl_u32 v38, v34, v0, 3
	buffer_gl0_inv
	v_lshrrev_b32_e32 v52, 5, v70
	ds_load_b64 v[34:35], v37
	ds_load_b64 v[36:37], v38 offset:2048
	ds_load_b64 v[38:39], v39 offset:4096
	;; [unrolled: 1-line block ×3, first 2 shown]
	v_lshrrev_b32_e32 v42, 5, v76
	v_lshrrev_b32_e32 v50, 5, v72
	;; [unrolled: 1-line block ×5, first 2 shown]
	v_add_lshl_u32 v53, v51, v0, 3
	v_lshrrev_b32_e32 v51, 5, v69
	v_add_lshl_u32 v54, v52, v0, 3
	v_lshrrev_b32_e32 v52, 5, v68
	v_lshrrev_b32_e32 v55, 5, v67
	;; [unrolled: 1-line block ×4, first 2 shown]
	v_add_lshl_u32 v42, v42, v0, 3
	v_add_lshl_u32 v50, v50, v0, 3
	;; [unrolled: 1-line block ×10, first 2 shown]
	ds_load_b64 v[42:43], v42 offset:8192
	ds_load_b64 v[44:45], v46 offset:10240
	;; [unrolled: 1-line block ×12, first 2 shown]
	v_add_co_u32 v64, s5, s2, v80
	s_delay_alu instid0(VALU_DEP_1)
	v_add_co_ci_u32_e64 v95, null, s3, 0, s5
	s_waitcnt lgkmcnt(14)
	global_store_b64 v80, v[36:37], s[2:3] offset:2048
	v_add_co_u32 v36, vcc_lo, 0x1000, v64
	v_add_co_ci_u32_e32 v37, vcc_lo, 0, v95, vcc_lo
	v_add_co_u32 v85, vcc_lo, v64, 0x2000
	v_add_co_ci_u32_e32 v86, vcc_lo, 0, v95, vcc_lo
	;; [unrolled: 2-line block ×6, first 2 shown]
	s_waitcnt lgkmcnt(13)
	global_store_b64 v[85:86], v[38:39], off offset:-4096
	s_waitcnt lgkmcnt(11)
	global_store_b64 v[85:86], v[42:43], off
	s_waitcnt lgkmcnt(9)
	global_store_b64 v[91:92], v[46:47], off offset:-4096
	s_waitcnt lgkmcnt(7)
	s_clause 0x3
	global_store_b64 v[91:92], v[50:51], off
	global_store_b64 v[36:37], v[40:41], off offset:2048
	global_store_b64 v[87:88], v[44:45], off offset:2048
	;; [unrolled: 1-line block ×3, first 2 shown]
	s_waitcnt lgkmcnt(6)
	global_store_b64 v[93:94], v[52:53], off offset:2048
	v_add_co_u32 v36, vcc_lo, v64, 0x6000
	v_add_co_ci_u32_e32 v37, vcc_lo, 0, v95, vcc_lo
	v_add_co_u32 v38, vcc_lo, 0x5000, v64
	v_add_co_ci_u32_e32 v39, vcc_lo, 0, v95, vcc_lo
	;; [unrolled: 2-line block ×4, first 2 shown]
	s_mov_b32 s4, 0
	s_waitcnt lgkmcnt(5)
	s_clause 0x1
	global_store_b64 v[36:37], v[54:55], off offset:-4096
	global_store_b64 v80, v[34:35], s[2:3]
	s_waitcnt lgkmcnt(3)
	s_clause 0x1
	global_store_b64 v[36:37], v[58:59], off
	global_store_b64 v[38:39], v[56:57], off offset:2048
	s_waitcnt lgkmcnt(2)
	global_store_b64 v[40:41], v[60:61], off offset:2048
	s_waitcnt lgkmcnt(1)
	global_store_b64 v[42:43], v[62:63], off
	s_waitcnt lgkmcnt(0)
	global_store_b64 v[42:43], v[83:84], off offset:2048
.LBB19_94:
	s_and_not1_b32 vcc_lo, exec_lo, s4
	s_cbranch_vccnz .LBB19_167
; %bb.95:
	v_lshl_add_u32 v33, v82, 3, v33
	v_add_co_u32 v34, s2, s2, v80
	s_delay_alu instid0(VALU_DEP_1)
	v_add_co_ci_u32_e64 v35, null, s3, 0, s2
	ds_store_2addr_b64 v33, v[1:2], v[3:4] offset1:1
	ds_store_2addr_b64 v33, v[5:6], v[7:8] offset0:2 offset1:3
	ds_store_2addr_b64 v33, v[9:10], v[11:12] offset0:4 offset1:5
	;; [unrolled: 1-line block ×7, first 2 shown]
	v_lshrrev_b32_e32 v1, 5, v79
	v_lshrrev_b32_e32 v2, 5, v78
	;; [unrolled: 1-line block ×3, first 2 shown]
	v_add_lshl_u32 v4, v81, v0, 3
	v_lshrrev_b32_e32 v10, 5, v76
	v_add_lshl_u32 v1, v1, v0, 3
	v_lshrrev_b32_e32 v11, 5, v75
	;; [unrolled: 2-line block ×4, first 2 shown]
	s_waitcnt lgkmcnt(0)
	s_waitcnt_vscnt null, 0x0
	s_barrier
	buffer_gl0_inv
	ds_load_b64 v[4:5], v4
	ds_load_b64 v[2:3], v1 offset:2048
	ds_load_b64 v[6:7], v6 offset:4096
	;; [unrolled: 1-line block ×3, first 2 shown]
	v_add_lshl_u32 v1, v10, v0, 3
	v_lshrrev_b32_e32 v18, 5, v72
	v_add_lshl_u32 v14, v11, v0, 3
	v_lshrrev_b32_e32 v19, 5, v71
	v_lshrrev_b32_e32 v20, 5, v70
	v_add_lshl_u32 v15, v12, v0, 3
	v_add_lshl_u32 v16, v13, v0, 3
	ds_load_b64 v[10:11], v1 offset:8192
	ds_load_b64 v[12:13], v14 offset:10240
	;; [unrolled: 1-line block ×4, first 2 shown]
	v_add_lshl_u32 v1, v18, v0, 3
	v_lshrrev_b32_e32 v18, 5, v69
	v_add_lshl_u32 v21, v19, v0, 3
	v_add_lshl_u32 v22, v20, v0, 3
	v_lshrrev_b32_e32 v19, 5, v68
	v_lshrrev_b32_e32 v20, 5, v67
	;; [unrolled: 1-line block ×4, first 2 shown]
	v_add_lshl_u32 v25, v18, v0, 3
	v_add_lshl_u32 v26, v19, v0, 3
	;; [unrolled: 1-line block ×5, first 2 shown]
	ds_load_b64 v[18:19], v1 offset:16384
	ds_load_b64 v[20:21], v21 offset:18432
	;; [unrolled: 1-line block ×8, first 2 shown]
	v_mov_b32_e32 v1, 0
	s_mov_b32 s2, exec_lo
	v_cmpx_gt_u32_e64 s18, v0
	s_cbranch_execnz .LBB19_183
; %bb.96:
	s_or_b32 exec_lo, exec_lo, s2
	s_delay_alu instid0(SALU_CYCLE_1)
	s_mov_b32 s2, exec_lo
	v_cmpx_gt_u32_e64 s18, v79
	s_cbranch_execnz .LBB19_184
.LBB19_97:
	s_or_b32 exec_lo, exec_lo, s2
	s_delay_alu instid0(SALU_CYCLE_1)
	s_mov_b32 s2, exec_lo
	v_cmpx_gt_u32_e64 s18, v78
	s_cbranch_execnz .LBB19_185
.LBB19_98:
	s_or_b32 exec_lo, exec_lo, s2
	s_delay_alu instid0(SALU_CYCLE_1)
	s_mov_b32 s2, exec_lo
	v_cmpx_gt_u32_e64 s18, v77
	s_cbranch_execnz .LBB19_186
.LBB19_99:
	s_or_b32 exec_lo, exec_lo, s2
	s_delay_alu instid0(SALU_CYCLE_1)
	s_mov_b32 s2, exec_lo
	v_cmpx_gt_u32_e64 s18, v76
	s_cbranch_execnz .LBB19_187
.LBB19_100:
	s_or_b32 exec_lo, exec_lo, s2
	s_delay_alu instid0(SALU_CYCLE_1)
	s_mov_b32 s2, exec_lo
	v_cmpx_gt_u32_e64 s18, v75
	s_cbranch_execnz .LBB19_188
.LBB19_101:
	s_or_b32 exec_lo, exec_lo, s2
	s_delay_alu instid0(SALU_CYCLE_1)
	s_mov_b32 s2, exec_lo
	v_cmpx_gt_u32_e64 s18, v74
	s_cbranch_execnz .LBB19_189
.LBB19_102:
	s_or_b32 exec_lo, exec_lo, s2
	s_delay_alu instid0(SALU_CYCLE_1)
	s_mov_b32 s2, exec_lo
	v_cmpx_gt_u32_e64 s18, v73
	s_cbranch_execnz .LBB19_190
.LBB19_103:
	s_or_b32 exec_lo, exec_lo, s2
	s_delay_alu instid0(SALU_CYCLE_1)
	s_mov_b32 s2, exec_lo
	v_cmpx_gt_u32_e64 s18, v72
	s_cbranch_execnz .LBB19_191
.LBB19_104:
	s_or_b32 exec_lo, exec_lo, s2
	s_delay_alu instid0(SALU_CYCLE_1)
	s_mov_b32 s2, exec_lo
	v_cmpx_gt_u32_e64 s18, v71
	s_cbranch_execnz .LBB19_192
.LBB19_105:
	s_or_b32 exec_lo, exec_lo, s2
	s_delay_alu instid0(SALU_CYCLE_1)
	s_mov_b32 s2, exec_lo
	v_cmpx_gt_u32_e64 s18, v70
	s_cbranch_execnz .LBB19_193
.LBB19_106:
	s_or_b32 exec_lo, exec_lo, s2
	s_delay_alu instid0(SALU_CYCLE_1)
	s_mov_b32 s2, exec_lo
	v_cmpx_gt_u32_e64 s18, v69
	s_cbranch_execnz .LBB19_194
.LBB19_107:
	s_or_b32 exec_lo, exec_lo, s2
	s_delay_alu instid0(SALU_CYCLE_1)
	s_mov_b32 s2, exec_lo
	v_cmpx_gt_u32_e64 s18, v68
	s_cbranch_execnz .LBB19_195
.LBB19_108:
	s_or_b32 exec_lo, exec_lo, s2
	s_delay_alu instid0(SALU_CYCLE_1)
	s_mov_b32 s2, exec_lo
	v_cmpx_gt_u32_e64 s18, v67
	s_cbranch_execnz .LBB19_196
.LBB19_109:
	s_or_b32 exec_lo, exec_lo, s2
	s_delay_alu instid0(SALU_CYCLE_1)
	s_mov_b32 s2, exec_lo
	v_cmpx_gt_u32_e64 s18, v66
	s_cbranch_execnz .LBB19_197
.LBB19_110:
	s_or_b32 exec_lo, exec_lo, s2
	s_delay_alu instid0(SALU_CYCLE_1)
	s_mov_b32 s2, exec_lo
	v_cmpx_gt_u32_e64 s18, v65
	s_cbranch_execz .LBB19_112
.LBB19_111:
	v_add_co_u32 v34, vcc_lo, 0x7000, v34
	v_add_co_ci_u32_e32 v35, vcc_lo, 0, v35, vcc_lo
	s_waitcnt lgkmcnt(0)
	global_store_b64 v[34:35], v[32:33], off offset:2048
.LBB19_112:
	s_or_b32 exec_lo, exec_lo, s2
	s_load_b32 s0, s[0:1], 0x48
	s_waitcnt lgkmcnt(0)
	s_bfe_u32 s0, s0, 0x10008
	s_delay_alu instid0(SALU_CYCLE_1)
	s_cmp_eq_u32 s0, 0
	s_cbranch_scc1 .LBB19_167
; %bb.113:
	s_add_u32 s0, s18, -1
	s_addc_u32 s1, s19, -1
	s_delay_alu instid0(SALU_CYCLE_1)
	s_lshr_b64 s[2:3], s[0:1], 4
	s_mov_b32 s1, exec_lo
	v_cmpx_eq_u64_e64 s[2:3], v[0:1]
	s_cbranch_execz .LBB19_167
; %bb.114:
	s_and_b32 s0, s0, 15
	s_mov_b32 s1, 0
	s_delay_alu instid0(SALU_CYCLE_1) | instskip(NEXT) | instid1(VALU_DEP_1)
	v_cmp_lt_i64_e64 s2, s[0:1], 8
	s_and_b32 vcc_lo, exec_lo, s2
	s_mov_b32 s2, -1
	s_cbranch_vccnz .LBB19_141
; %bb.115:
	v_cmp_lt_i64_e64 s2, s[0:1], 12
	s_delay_alu instid0(VALU_DEP_1)
	s_and_b32 vcc_lo, exec_lo, s2
	s_mov_b32 s2, -1
	s_cbranch_vccnz .LBB19_128
; %bb.116:
	v_cmp_lt_i64_e64 s2, s[0:1], 14
	s_delay_alu instid0(VALU_DEP_1)
	s_and_b32 vcc_lo, exec_lo, s2
	s_mov_b32 s2, -1
	s_cbranch_vccnz .LBB19_122
; %bb.117:
	v_cmp_gt_i64_e64 s2, s[0:1], 14
	s_delay_alu instid0(VALU_DEP_1)
	s_and_b32 vcc_lo, exec_lo, s2
	s_mov_b32 s2, -1
	s_cbranch_vccz .LBB19_119
; %bb.118:
	v_mov_b32_e32 v0, 0
	s_mov_b32 s2, 0
	global_store_b64 v0, v[32:33], s[14:15]
.LBB19_119:
	s_and_not1_b32 vcc_lo, exec_lo, s2
	s_cbranch_vccnz .LBB19_121
; %bb.120:
	v_mov_b32_e32 v0, 0
	global_store_b64 v0, v[30:31], s[14:15]
.LBB19_121:
	s_mov_b32 s2, 0
.LBB19_122:
	s_delay_alu instid0(SALU_CYCLE_1)
	s_and_not1_b32 vcc_lo, exec_lo, s2
	s_cbranch_vccnz .LBB19_127
; %bb.123:
	v_cmp_gt_i64_e64 s2, s[0:1], 12
	s_delay_alu instid0(VALU_DEP_1)
	s_and_b32 vcc_lo, exec_lo, s2
	s_mov_b32 s2, -1
	s_cbranch_vccz .LBB19_125
; %bb.124:
	v_mov_b32_e32 v0, 0
	s_mov_b32 s2, 0
	global_store_b64 v0, v[28:29], s[14:15]
.LBB19_125:
	s_and_not1_b32 vcc_lo, exec_lo, s2
	s_cbranch_vccnz .LBB19_127
; %bb.126:
	v_mov_b32_e32 v0, 0
	global_store_b64 v0, v[26:27], s[14:15]
.LBB19_127:
	s_mov_b32 s2, 0
.LBB19_128:
	s_delay_alu instid0(SALU_CYCLE_1)
	s_and_not1_b32 vcc_lo, exec_lo, s2
	s_cbranch_vccnz .LBB19_140
; %bb.129:
	v_cmp_lt_i64_e64 s2, s[0:1], 10
	s_delay_alu instid0(VALU_DEP_1)
	s_and_b32 vcc_lo, exec_lo, s2
	s_mov_b32 s2, -1
	s_cbranch_vccnz .LBB19_135
; %bb.130:
	v_cmp_gt_i64_e64 s2, s[0:1], 10
	s_delay_alu instid0(VALU_DEP_1)
	s_and_b32 vcc_lo, exec_lo, s2
	s_mov_b32 s2, -1
	s_cbranch_vccz .LBB19_132
; %bb.131:
	v_mov_b32_e32 v0, 0
	s_mov_b32 s2, 0
	global_store_b64 v0, v[24:25], s[14:15]
.LBB19_132:
	s_and_not1_b32 vcc_lo, exec_lo, s2
	s_cbranch_vccnz .LBB19_134
; %bb.133:
	v_mov_b32_e32 v0, 0
	global_store_b64 v0, v[22:23], s[14:15]
.LBB19_134:
	s_mov_b32 s2, 0
.LBB19_135:
	s_delay_alu instid0(SALU_CYCLE_1)
	s_and_not1_b32 vcc_lo, exec_lo, s2
	s_cbranch_vccnz .LBB19_140
; %bb.136:
	v_cmp_gt_i64_e64 s2, s[0:1], 8
	s_delay_alu instid0(VALU_DEP_1)
	s_and_b32 vcc_lo, exec_lo, s2
	s_mov_b32 s2, -1
	s_cbranch_vccz .LBB19_138
; %bb.137:
	v_mov_b32_e32 v0, 0
	s_mov_b32 s2, 0
	global_store_b64 v0, v[20:21], s[14:15]
.LBB19_138:
	s_and_not1_b32 vcc_lo, exec_lo, s2
	s_cbranch_vccnz .LBB19_140
; %bb.139:
	v_mov_b32_e32 v0, 0
	global_store_b64 v0, v[18:19], s[14:15]
.LBB19_140:
	s_mov_b32 s2, 0
.LBB19_141:
	s_delay_alu instid0(SALU_CYCLE_1)
	s_and_not1_b32 vcc_lo, exec_lo, s2
	s_cbranch_vccnz .LBB19_167
; %bb.142:
	v_cmp_lt_i64_e64 s2, s[0:1], 4
	s_delay_alu instid0(VALU_DEP_1)
	s_and_b32 vcc_lo, exec_lo, s2
	s_mov_b32 s2, -1
	s_cbranch_vccnz .LBB19_155
; %bb.143:
	v_cmp_lt_i64_e64 s2, s[0:1], 6
	s_delay_alu instid0(VALU_DEP_1)
	s_and_b32 vcc_lo, exec_lo, s2
	s_mov_b32 s2, -1
	s_cbranch_vccnz .LBB19_149
; %bb.144:
	v_cmp_gt_i64_e64 s2, s[0:1], 6
	s_delay_alu instid0(VALU_DEP_1)
	s_and_b32 vcc_lo, exec_lo, s2
	s_mov_b32 s2, -1
	s_cbranch_vccz .LBB19_146
; %bb.145:
	v_mov_b32_e32 v0, 0
	s_mov_b32 s2, 0
	global_store_b64 v0, v[16:17], s[14:15]
.LBB19_146:
	s_and_not1_b32 vcc_lo, exec_lo, s2
	s_cbranch_vccnz .LBB19_148
; %bb.147:
	v_mov_b32_e32 v0, 0
	global_store_b64 v0, v[14:15], s[14:15]
.LBB19_148:
	s_mov_b32 s2, 0
.LBB19_149:
	s_delay_alu instid0(SALU_CYCLE_1)
	s_and_not1_b32 vcc_lo, exec_lo, s2
	s_cbranch_vccnz .LBB19_154
; %bb.150:
	v_cmp_gt_i64_e64 s2, s[0:1], 4
	s_delay_alu instid0(VALU_DEP_1)
	s_and_b32 vcc_lo, exec_lo, s2
	s_mov_b32 s2, -1
	s_cbranch_vccz .LBB19_152
; %bb.151:
	v_mov_b32_e32 v0, 0
	s_mov_b32 s2, 0
	global_store_b64 v0, v[12:13], s[14:15]
.LBB19_152:
	s_and_not1_b32 vcc_lo, exec_lo, s2
	s_cbranch_vccnz .LBB19_154
; %bb.153:
	v_mov_b32_e32 v0, 0
	global_store_b64 v0, v[10:11], s[14:15]
.LBB19_154:
	s_mov_b32 s2, 0
.LBB19_155:
	s_delay_alu instid0(SALU_CYCLE_1)
	s_and_not1_b32 vcc_lo, exec_lo, s2
	s_cbranch_vccnz .LBB19_167
; %bb.156:
	v_cmp_lt_i64_e64 s2, s[0:1], 2
	s_delay_alu instid0(VALU_DEP_1)
	s_and_b32 vcc_lo, exec_lo, s2
	s_mov_b32 s2, -1
	s_cbranch_vccnz .LBB19_162
; %bb.157:
	v_cmp_gt_i64_e64 s2, s[0:1], 2
	s_delay_alu instid0(VALU_DEP_1)
	s_and_b32 vcc_lo, exec_lo, s2
	s_mov_b32 s2, -1
	s_cbranch_vccz .LBB19_159
; %bb.158:
	v_mov_b32_e32 v0, 0
	s_mov_b32 s2, 0
	global_store_b64 v0, v[8:9], s[14:15]
.LBB19_159:
	s_and_not1_b32 vcc_lo, exec_lo, s2
	s_cbranch_vccnz .LBB19_161
; %bb.160:
	v_mov_b32_e32 v0, 0
	global_store_b64 v0, v[6:7], s[14:15]
.LBB19_161:
	s_mov_b32 s2, 0
.LBB19_162:
	s_delay_alu instid0(SALU_CYCLE_1)
	s_and_not1_b32 vcc_lo, exec_lo, s2
	s_cbranch_vccnz .LBB19_167
; %bb.163:
	s_cmp_eq_u64 s[0:1], 1
	s_mov_b32 s0, -1
	s_cbranch_scc1 .LBB19_165
; %bb.164:
	v_mov_b32_e32 v0, 0
	s_mov_b32 s0, 0
	global_store_b64 v0, v[4:5], s[14:15]
.LBB19_165:
	s_and_not1_b32 vcc_lo, exec_lo, s0
	s_cbranch_vccnz .LBB19_167
; %bb.166:
	v_mov_b32_e32 v0, 0
	global_store_b64 v0, v[2:3], s[14:15]
.LBB19_167:
	s_nop 0
	s_sendmsg sendmsg(MSG_DEALLOC_VGPRS)
	s_endpgm
.LBB19_168:
	global_load_b64 v[33:34], v[35:36], off
	v_dual_mov_b32 v1, s36 :: v_dual_mov_b32 v2, s37
	v_dual_mov_b32 v3, s38 :: v_dual_mov_b32 v4, s39
	;; [unrolled: 1-line block ×16, first 2 shown]
	s_or_b32 exec_lo, exec_lo, s3
	s_delay_alu instid0(SALU_CYCLE_1)
	s_mov_b32 s2, exec_lo
	v_cmpx_gt_u32_e64 s18, v79
	s_cbranch_execz .LBB19_5
.LBB19_169:
	global_load_b64 v[3:4], v[35:36], off offset:2048
	s_or_b32 exec_lo, exec_lo, s2
	s_delay_alu instid0(SALU_CYCLE_1)
	s_mov_b32 s2, exec_lo
	v_cmpx_gt_u32_e64 s18, v78
	s_cbranch_execz .LBB19_6
.LBB19_170:
	v_add_co_u32 v1, vcc_lo, 0x1000, v35
	v_add_co_ci_u32_e32 v2, vcc_lo, 0, v36, vcc_lo
	global_load_b64 v[5:6], v[1:2], off
	s_or_b32 exec_lo, exec_lo, s2
	s_delay_alu instid0(SALU_CYCLE_1)
	s_mov_b32 s2, exec_lo
	v_cmpx_gt_u32_e64 s18, v77
	s_cbranch_execz .LBB19_7
.LBB19_171:
	v_add_co_u32 v1, vcc_lo, 0x1000, v35
	v_add_co_ci_u32_e32 v2, vcc_lo, 0, v36, vcc_lo
	global_load_b64 v[7:8], v[1:2], off offset:2048
	s_or_b32 exec_lo, exec_lo, s2
	s_delay_alu instid0(SALU_CYCLE_1)
	s_mov_b32 s2, exec_lo
	v_cmpx_gt_u32_e64 s18, v76
	s_cbranch_execz .LBB19_8
.LBB19_172:
	v_add_co_u32 v1, vcc_lo, 0x2000, v35
	v_add_co_ci_u32_e32 v2, vcc_lo, 0, v36, vcc_lo
	global_load_b64 v[9:10], v[1:2], off
	s_or_b32 exec_lo, exec_lo, s2
	s_delay_alu instid0(SALU_CYCLE_1)
	s_mov_b32 s2, exec_lo
	v_cmpx_gt_u32_e64 s18, v75
	s_cbranch_execz .LBB19_9
.LBB19_173:
	v_add_co_u32 v1, vcc_lo, 0x2000, v35
	v_add_co_ci_u32_e32 v2, vcc_lo, 0, v36, vcc_lo
	global_load_b64 v[11:12], v[1:2], off offset:2048
	s_or_b32 exec_lo, exec_lo, s2
	s_delay_alu instid0(SALU_CYCLE_1)
	s_mov_b32 s2, exec_lo
	v_cmpx_gt_u32_e64 s18, v74
	s_cbranch_execz .LBB19_10
.LBB19_174:
	v_add_co_u32 v1, vcc_lo, 0x3000, v35
	v_add_co_ci_u32_e32 v2, vcc_lo, 0, v36, vcc_lo
	global_load_b64 v[13:14], v[1:2], off
	s_or_b32 exec_lo, exec_lo, s2
	s_delay_alu instid0(SALU_CYCLE_1)
	s_mov_b32 s2, exec_lo
	v_cmpx_gt_u32_e64 s18, v73
	s_cbranch_execz .LBB19_11
.LBB19_175:
	v_add_co_u32 v1, vcc_lo, 0x3000, v35
	v_add_co_ci_u32_e32 v2, vcc_lo, 0, v36, vcc_lo
	global_load_b64 v[15:16], v[1:2], off offset:2048
	s_or_b32 exec_lo, exec_lo, s2
	s_delay_alu instid0(SALU_CYCLE_1)
	s_mov_b32 s2, exec_lo
	v_cmpx_gt_u32_e64 s18, v72
	s_cbranch_execz .LBB19_12
.LBB19_176:
	v_add_co_u32 v1, vcc_lo, 0x4000, v35
	v_add_co_ci_u32_e32 v2, vcc_lo, 0, v36, vcc_lo
	global_load_b64 v[17:18], v[1:2], off
	s_or_b32 exec_lo, exec_lo, s2
	s_delay_alu instid0(SALU_CYCLE_1)
	s_mov_b32 s2, exec_lo
	v_cmpx_gt_u32_e64 s18, v71
	s_cbranch_execz .LBB19_13
.LBB19_177:
	v_add_co_u32 v1, vcc_lo, 0x4000, v35
	v_add_co_ci_u32_e32 v2, vcc_lo, 0, v36, vcc_lo
	global_load_b64 v[19:20], v[1:2], off offset:2048
	s_or_b32 exec_lo, exec_lo, s2
	s_delay_alu instid0(SALU_CYCLE_1)
	s_mov_b32 s2, exec_lo
	v_cmpx_gt_u32_e64 s18, v70
	s_cbranch_execz .LBB19_14
.LBB19_178:
	v_add_co_u32 v1, vcc_lo, 0x5000, v35
	v_add_co_ci_u32_e32 v2, vcc_lo, 0, v36, vcc_lo
	global_load_b64 v[21:22], v[1:2], off
	s_or_b32 exec_lo, exec_lo, s2
	s_delay_alu instid0(SALU_CYCLE_1)
	s_mov_b32 s2, exec_lo
	v_cmpx_gt_u32_e64 s18, v69
	s_cbranch_execz .LBB19_15
.LBB19_179:
	v_add_co_u32 v1, vcc_lo, 0x5000, v35
	v_add_co_ci_u32_e32 v2, vcc_lo, 0, v36, vcc_lo
	global_load_b64 v[23:24], v[1:2], off offset:2048
	s_or_b32 exec_lo, exec_lo, s2
	s_delay_alu instid0(SALU_CYCLE_1)
	s_mov_b32 s2, exec_lo
	v_cmpx_gt_u32_e64 s18, v68
	s_cbranch_execz .LBB19_16
.LBB19_180:
	v_add_co_u32 v1, vcc_lo, 0x6000, v35
	v_add_co_ci_u32_e32 v2, vcc_lo, 0, v36, vcc_lo
	global_load_b64 v[25:26], v[1:2], off
	s_or_b32 exec_lo, exec_lo, s2
	s_delay_alu instid0(SALU_CYCLE_1)
	s_mov_b32 s2, exec_lo
	v_cmpx_gt_u32_e64 s18, v67
	s_cbranch_execz .LBB19_17
.LBB19_181:
	v_add_co_u32 v1, vcc_lo, 0x6000, v35
	v_add_co_ci_u32_e32 v2, vcc_lo, 0, v36, vcc_lo
	global_load_b64 v[27:28], v[1:2], off offset:2048
	s_or_b32 exec_lo, exec_lo, s2
	s_delay_alu instid0(SALU_CYCLE_1)
	s_mov_b32 s2, exec_lo
	v_cmpx_gt_u32_e64 s18, v66
	s_cbranch_execz .LBB19_18
.LBB19_182:
	v_add_co_u32 v1, vcc_lo, 0x7000, v35
	v_add_co_ci_u32_e32 v2, vcc_lo, 0, v36, vcc_lo
	global_load_b64 v[29:30], v[1:2], off
	s_or_b32 exec_lo, exec_lo, s2
	s_delay_alu instid0(SALU_CYCLE_1)
	s_mov_b32 s2, exec_lo
	v_cmpx_gt_u32_e64 s18, v65
	s_cbranch_execnz .LBB19_19
	s_branch .LBB19_20
.LBB19_183:
	s_waitcnt lgkmcnt(15)
	global_store_b64 v[34:35], v[4:5], off
	s_or_b32 exec_lo, exec_lo, s2
	s_delay_alu instid0(SALU_CYCLE_1)
	s_mov_b32 s2, exec_lo
	v_cmpx_gt_u32_e64 s18, v79
	s_cbranch_execz .LBB19_97
.LBB19_184:
	s_waitcnt lgkmcnt(14)
	global_store_b64 v[34:35], v[2:3], off offset:2048
	s_or_b32 exec_lo, exec_lo, s2
	s_delay_alu instid0(SALU_CYCLE_1)
	s_mov_b32 s2, exec_lo
	v_cmpx_gt_u32_e64 s18, v78
	s_cbranch_execz .LBB19_98
.LBB19_185:
	v_add_co_u32 v36, vcc_lo, 0x1000, v34
	v_add_co_ci_u32_e32 v37, vcc_lo, 0, v35, vcc_lo
	s_waitcnt lgkmcnt(13)
	global_store_b64 v[36:37], v[6:7], off
	s_or_b32 exec_lo, exec_lo, s2
	s_delay_alu instid0(SALU_CYCLE_1)
	s_mov_b32 s2, exec_lo
	v_cmpx_gt_u32_e64 s18, v77
	s_cbranch_execz .LBB19_99
.LBB19_186:
	v_add_co_u32 v36, vcc_lo, 0x1000, v34
	v_add_co_ci_u32_e32 v37, vcc_lo, 0, v35, vcc_lo
	s_waitcnt lgkmcnt(12)
	global_store_b64 v[36:37], v[8:9], off offset:2048
	s_or_b32 exec_lo, exec_lo, s2
	s_delay_alu instid0(SALU_CYCLE_1)
	s_mov_b32 s2, exec_lo
	v_cmpx_gt_u32_e64 s18, v76
	s_cbranch_execz .LBB19_100
.LBB19_187:
	v_add_co_u32 v36, vcc_lo, 0x2000, v34
	v_add_co_ci_u32_e32 v37, vcc_lo, 0, v35, vcc_lo
	s_waitcnt lgkmcnt(11)
	global_store_b64 v[36:37], v[10:11], off
	s_or_b32 exec_lo, exec_lo, s2
	s_delay_alu instid0(SALU_CYCLE_1)
	s_mov_b32 s2, exec_lo
	v_cmpx_gt_u32_e64 s18, v75
	s_cbranch_execz .LBB19_101
.LBB19_188:
	v_add_co_u32 v36, vcc_lo, 0x2000, v34
	v_add_co_ci_u32_e32 v37, vcc_lo, 0, v35, vcc_lo
	s_waitcnt lgkmcnt(10)
	global_store_b64 v[36:37], v[12:13], off offset:2048
	s_or_b32 exec_lo, exec_lo, s2
	s_delay_alu instid0(SALU_CYCLE_1)
	s_mov_b32 s2, exec_lo
	v_cmpx_gt_u32_e64 s18, v74
	s_cbranch_execz .LBB19_102
.LBB19_189:
	v_add_co_u32 v36, vcc_lo, 0x3000, v34
	v_add_co_ci_u32_e32 v37, vcc_lo, 0, v35, vcc_lo
	s_waitcnt lgkmcnt(9)
	global_store_b64 v[36:37], v[14:15], off
	s_or_b32 exec_lo, exec_lo, s2
	s_delay_alu instid0(SALU_CYCLE_1)
	s_mov_b32 s2, exec_lo
	v_cmpx_gt_u32_e64 s18, v73
	s_cbranch_execz .LBB19_103
.LBB19_190:
	v_add_co_u32 v36, vcc_lo, 0x3000, v34
	v_add_co_ci_u32_e32 v37, vcc_lo, 0, v35, vcc_lo
	s_waitcnt lgkmcnt(8)
	global_store_b64 v[36:37], v[16:17], off offset:2048
	s_or_b32 exec_lo, exec_lo, s2
	s_delay_alu instid0(SALU_CYCLE_1)
	s_mov_b32 s2, exec_lo
	v_cmpx_gt_u32_e64 s18, v72
	s_cbranch_execz .LBB19_104
.LBB19_191:
	v_add_co_u32 v36, vcc_lo, 0x4000, v34
	v_add_co_ci_u32_e32 v37, vcc_lo, 0, v35, vcc_lo
	s_waitcnt lgkmcnt(7)
	global_store_b64 v[36:37], v[18:19], off
	s_or_b32 exec_lo, exec_lo, s2
	s_delay_alu instid0(SALU_CYCLE_1)
	s_mov_b32 s2, exec_lo
	v_cmpx_gt_u32_e64 s18, v71
	s_cbranch_execz .LBB19_105
.LBB19_192:
	v_add_co_u32 v36, vcc_lo, 0x4000, v34
	v_add_co_ci_u32_e32 v37, vcc_lo, 0, v35, vcc_lo
	s_waitcnt lgkmcnt(6)
	global_store_b64 v[36:37], v[20:21], off offset:2048
	s_or_b32 exec_lo, exec_lo, s2
	s_delay_alu instid0(SALU_CYCLE_1)
	s_mov_b32 s2, exec_lo
	v_cmpx_gt_u32_e64 s18, v70
	s_cbranch_execz .LBB19_106
.LBB19_193:
	v_add_co_u32 v36, vcc_lo, 0x5000, v34
	v_add_co_ci_u32_e32 v37, vcc_lo, 0, v35, vcc_lo
	s_waitcnt lgkmcnt(5)
	global_store_b64 v[36:37], v[22:23], off
	s_or_b32 exec_lo, exec_lo, s2
	s_delay_alu instid0(SALU_CYCLE_1)
	s_mov_b32 s2, exec_lo
	v_cmpx_gt_u32_e64 s18, v69
	s_cbranch_execz .LBB19_107
.LBB19_194:
	v_add_co_u32 v36, vcc_lo, 0x5000, v34
	v_add_co_ci_u32_e32 v37, vcc_lo, 0, v35, vcc_lo
	s_waitcnt lgkmcnt(4)
	global_store_b64 v[36:37], v[24:25], off offset:2048
	s_or_b32 exec_lo, exec_lo, s2
	s_delay_alu instid0(SALU_CYCLE_1)
	s_mov_b32 s2, exec_lo
	v_cmpx_gt_u32_e64 s18, v68
	s_cbranch_execz .LBB19_108
.LBB19_195:
	v_add_co_u32 v36, vcc_lo, 0x6000, v34
	v_add_co_ci_u32_e32 v37, vcc_lo, 0, v35, vcc_lo
	s_waitcnt lgkmcnt(3)
	global_store_b64 v[36:37], v[26:27], off
	s_or_b32 exec_lo, exec_lo, s2
	s_delay_alu instid0(SALU_CYCLE_1)
	s_mov_b32 s2, exec_lo
	v_cmpx_gt_u32_e64 s18, v67
	s_cbranch_execz .LBB19_109
.LBB19_196:
	v_add_co_u32 v36, vcc_lo, 0x6000, v34
	v_add_co_ci_u32_e32 v37, vcc_lo, 0, v35, vcc_lo
	s_waitcnt lgkmcnt(2)
	global_store_b64 v[36:37], v[28:29], off offset:2048
	s_or_b32 exec_lo, exec_lo, s2
	s_delay_alu instid0(SALU_CYCLE_1)
	s_mov_b32 s2, exec_lo
	v_cmpx_gt_u32_e64 s18, v66
	s_cbranch_execz .LBB19_110
.LBB19_197:
	v_add_co_u32 v36, vcc_lo, 0x7000, v34
	v_add_co_ci_u32_e32 v37, vcc_lo, 0, v35, vcc_lo
	s_waitcnt lgkmcnt(1)
	global_store_b64 v[36:37], v[30:31], off
	s_or_b32 exec_lo, exec_lo, s2
	s_delay_alu instid0(SALU_CYCLE_1)
	s_mov_b32 s2, exec_lo
	v_cmpx_gt_u32_e64 s18, v65
	s_cbranch_execnz .LBB19_111
	s_branch .LBB19_112
	.section	.rodata,"a",@progbits
	.p2align	6, 0x0
	.amdhsa_kernel _ZN7rocprim17ROCPRIM_304000_NS6detail20lookback_scan_kernelILNS1_25lookback_scan_determinismE0ELb1ENS1_19wrapped_scan_configINS0_14default_configElEEPKlPlN2at4cuda3cub12_GLOBAL__N_15SumOpIlEEllNS1_19lookback_scan_stateIlLb0ELb1EEEEEvT2_T3_mT5_T4_T7_jPT6_SO_bb
		.amdhsa_group_segment_fixed_size 33792
		.amdhsa_private_segment_fixed_size 0
		.amdhsa_kernarg_size 76
		.amdhsa_user_sgpr_count 15
		.amdhsa_user_sgpr_dispatch_ptr 0
		.amdhsa_user_sgpr_queue_ptr 0
		.amdhsa_user_sgpr_kernarg_segment_ptr 1
		.amdhsa_user_sgpr_dispatch_id 0
		.amdhsa_user_sgpr_private_segment_size 0
		.amdhsa_wavefront_size32 1
		.amdhsa_uses_dynamic_stack 0
		.amdhsa_enable_private_segment 0
		.amdhsa_system_sgpr_workgroup_id_x 1
		.amdhsa_system_sgpr_workgroup_id_y 0
		.amdhsa_system_sgpr_workgroup_id_z 0
		.amdhsa_system_sgpr_workgroup_info 0
		.amdhsa_system_vgpr_workitem_id 0
		.amdhsa_next_free_vgpr 96
		.amdhsa_next_free_sgpr 68
		.amdhsa_reserve_vcc 1
		.amdhsa_float_round_mode_32 0
		.amdhsa_float_round_mode_16_64 0
		.amdhsa_float_denorm_mode_32 3
		.amdhsa_float_denorm_mode_16_64 3
		.amdhsa_dx10_clamp 1
		.amdhsa_ieee_mode 1
		.amdhsa_fp16_overflow 0
		.amdhsa_workgroup_processor_mode 1
		.amdhsa_memory_ordered 1
		.amdhsa_forward_progress 0
		.amdhsa_shared_vgpr_count 0
		.amdhsa_exception_fp_ieee_invalid_op 0
		.amdhsa_exception_fp_denorm_src 0
		.amdhsa_exception_fp_ieee_div_zero 0
		.amdhsa_exception_fp_ieee_overflow 0
		.amdhsa_exception_fp_ieee_underflow 0
		.amdhsa_exception_fp_ieee_inexact 0
		.amdhsa_exception_int_div_zero 0
	.end_amdhsa_kernel
	.section	.text._ZN7rocprim17ROCPRIM_304000_NS6detail20lookback_scan_kernelILNS1_25lookback_scan_determinismE0ELb1ENS1_19wrapped_scan_configINS0_14default_configElEEPKlPlN2at4cuda3cub12_GLOBAL__N_15SumOpIlEEllNS1_19lookback_scan_stateIlLb0ELb1EEEEEvT2_T3_mT5_T4_T7_jPT6_SO_bb,"axG",@progbits,_ZN7rocprim17ROCPRIM_304000_NS6detail20lookback_scan_kernelILNS1_25lookback_scan_determinismE0ELb1ENS1_19wrapped_scan_configINS0_14default_configElEEPKlPlN2at4cuda3cub12_GLOBAL__N_15SumOpIlEEllNS1_19lookback_scan_stateIlLb0ELb1EEEEEvT2_T3_mT5_T4_T7_jPT6_SO_bb,comdat
.Lfunc_end19:
	.size	_ZN7rocprim17ROCPRIM_304000_NS6detail20lookback_scan_kernelILNS1_25lookback_scan_determinismE0ELb1ENS1_19wrapped_scan_configINS0_14default_configElEEPKlPlN2at4cuda3cub12_GLOBAL__N_15SumOpIlEEllNS1_19lookback_scan_stateIlLb0ELb1EEEEEvT2_T3_mT5_T4_T7_jPT6_SO_bb, .Lfunc_end19-_ZN7rocprim17ROCPRIM_304000_NS6detail20lookback_scan_kernelILNS1_25lookback_scan_determinismE0ELb1ENS1_19wrapped_scan_configINS0_14default_configElEEPKlPlN2at4cuda3cub12_GLOBAL__N_15SumOpIlEEllNS1_19lookback_scan_stateIlLb0ELb1EEEEEvT2_T3_mT5_T4_T7_jPT6_SO_bb
                                        ; -- End function
	.section	.AMDGPU.csdata,"",@progbits
; Kernel info:
; codeLenInByte = 11212
; NumSgprs: 70
; NumVgprs: 96
; ScratchSize: 0
; MemoryBound: 1
; FloatMode: 240
; IeeeMode: 1
; LDSByteSize: 33792 bytes/workgroup (compile time only)
; SGPRBlocks: 8
; VGPRBlocks: 11
; NumSGPRsForWavesPerEU: 70
; NumVGPRsForWavesPerEU: 96
; Occupancy: 6
; WaveLimiterHint : 1
; COMPUTE_PGM_RSRC2:SCRATCH_EN: 0
; COMPUTE_PGM_RSRC2:USER_SGPR: 15
; COMPUTE_PGM_RSRC2:TRAP_HANDLER: 0
; COMPUTE_PGM_RSRC2:TGID_X_EN: 1
; COMPUTE_PGM_RSRC2:TGID_Y_EN: 0
; COMPUTE_PGM_RSRC2:TGID_Z_EN: 0
; COMPUTE_PGM_RSRC2:TIDIG_COMP_CNT: 0
	.section	.text._ZN7rocprim17ROCPRIM_304000_NS6detail18single_scan_kernelILb1ENS1_19wrapped_scan_configINS0_14default_configElEEPKlPlN2at4cuda3cub12_GLOBAL__N_15SumOpIlEEllEEvT1_mT4_T2_T3_,"axG",@progbits,_ZN7rocprim17ROCPRIM_304000_NS6detail18single_scan_kernelILb1ENS1_19wrapped_scan_configINS0_14default_configElEEPKlPlN2at4cuda3cub12_GLOBAL__N_15SumOpIlEEllEEvT1_mT4_T2_T3_,comdat
	.globl	_ZN7rocprim17ROCPRIM_304000_NS6detail18single_scan_kernelILb1ENS1_19wrapped_scan_configINS0_14default_configElEEPKlPlN2at4cuda3cub12_GLOBAL__N_15SumOpIlEEllEEvT1_mT4_T2_T3_ ; -- Begin function _ZN7rocprim17ROCPRIM_304000_NS6detail18single_scan_kernelILb1ENS1_19wrapped_scan_configINS0_14default_configElEEPKlPlN2at4cuda3cub12_GLOBAL__N_15SumOpIlEEllEEvT1_mT4_T2_T3_
	.p2align	8
	.type	_ZN7rocprim17ROCPRIM_304000_NS6detail18single_scan_kernelILb1ENS1_19wrapped_scan_configINS0_14default_configElEEPKlPlN2at4cuda3cub12_GLOBAL__N_15SumOpIlEEllEEvT1_mT4_T2_T3_,@function
_ZN7rocprim17ROCPRIM_304000_NS6detail18single_scan_kernelILb1ENS1_19wrapped_scan_configINS0_14default_configElEEPKlPlN2at4cuda3cub12_GLOBAL__N_15SumOpIlEEllEEvT1_mT4_T2_T3_: ; @_ZN7rocprim17ROCPRIM_304000_NS6detail18single_scan_kernelILb1ENS1_19wrapped_scan_configINS0_14default_configElEEPKlPlN2at4cuda3cub12_GLOBAL__N_15SumOpIlEEllEEvT1_mT4_T2_T3_
; %bb.0:
	s_load_b256 s[36:43], s[0:1], 0x0
	s_waitcnt lgkmcnt(0)
	s_load_b64 s[0:1], s[36:37], 0x0
	v_cmp_gt_u32_e32 vcc_lo, s38, v0
	s_waitcnt lgkmcnt(0)
	s_mov_b32 s2, s0
	s_mov_b32 s3, s1
	;; [unrolled: 1-line block ×30, first 2 shown]
	s_delay_alu instid0(SALU_CYCLE_1) | instskip(SKIP_2) | instid1(VALU_DEP_3)
	v_dual_mov_b32 v32, s31 :: v_dual_lshlrev_b32 v53, 3, v0
	v_dual_mov_b32 v1, s0 :: v_dual_mov_b32 v34, s1
	v_dual_mov_b32 v31, s30 :: v_dual_mov_b32 v30, s29
	v_add_co_u32 v35, s33, s36, v53
	s_delay_alu instid0(VALU_DEP_1)
	v_add_co_ci_u32_e64 v36, null, s37, 0, s33
	v_dual_mov_b32 v29, s28 :: v_dual_mov_b32 v28, s27
	v_dual_mov_b32 v27, s26 :: v_dual_mov_b32 v26, s25
	;; [unrolled: 1-line block ×14, first 2 shown]
	v_mov_b32_e32 v33, s0
	s_and_saveexec_b32 s33, vcc_lo
	s_cbranch_execz .LBB20_2
; %bb.1:
	global_load_b64 v[33:34], v[35:36], off
	v_dual_mov_b32 v32, s31 :: v_dual_mov_b32 v31, s30
	v_dual_mov_b32 v30, s29 :: v_dual_mov_b32 v29, s28
	;; [unrolled: 1-line block ×16, first 2 shown]
.LBB20_2:
	s_or_b32 exec_lo, exec_lo, s33
	v_or_b32_e32 v1, 0x100, v0
	s_delay_alu instid0(VALU_DEP_1) | instskip(NEXT) | instid1(VALU_DEP_1)
	v_cmp_gt_u32_e64 s0, s38, v1
	s_and_saveexec_b32 s1, s0
	s_cbranch_execz .LBB20_4
; %bb.3:
	global_load_b64 v[3:4], v[35:36], off offset:2048
.LBB20_4:
	s_or_b32 exec_lo, exec_lo, s1
	v_or_b32_e32 v2, 0x200, v0
	s_delay_alu instid0(VALU_DEP_1) | instskip(NEXT) | instid1(VALU_DEP_1)
	v_cmp_gt_u32_e64 s1, s38, v2
	s_and_saveexec_b32 s3, s1
	s_cbranch_execz .LBB20_6
; %bb.5:
	v_add_co_u32 v5, s2, 0x1000, v35
	s_delay_alu instid0(VALU_DEP_1)
	v_add_co_ci_u32_e64 v6, s2, 0, v36, s2
	global_load_b64 v[5:6], v[5:6], off
.LBB20_6:
	s_or_b32 exec_lo, exec_lo, s3
	v_or_b32_e32 v37, 0x300, v0
	s_delay_alu instid0(VALU_DEP_1) | instskip(NEXT) | instid1(VALU_DEP_1)
	v_cmp_gt_u32_e64 s2, s38, v37
	s_and_saveexec_b32 s4, s2
	s_cbranch_execz .LBB20_8
; %bb.7:
	v_add_co_u32 v7, s3, 0x1000, v35
	s_delay_alu instid0(VALU_DEP_1)
	v_add_co_ci_u32_e64 v8, s3, 0, v36, s3
	global_load_b64 v[7:8], v[7:8], off offset:2048
.LBB20_8:
	s_or_b32 exec_lo, exec_lo, s4
	v_or_b32_e32 v38, 0x400, v0
	s_delay_alu instid0(VALU_DEP_1) | instskip(NEXT) | instid1(VALU_DEP_1)
	v_cmp_gt_u32_e64 s3, s38, v38
	s_and_saveexec_b32 s5, s3
	s_cbranch_execz .LBB20_10
; %bb.9:
	v_add_co_u32 v9, s4, 0x2000, v35
	s_delay_alu instid0(VALU_DEP_1)
	v_add_co_ci_u32_e64 v10, s4, 0, v36, s4
	global_load_b64 v[9:10], v[9:10], off
.LBB20_10:
	s_or_b32 exec_lo, exec_lo, s5
	v_or_b32_e32 v39, 0x500, v0
	s_delay_alu instid0(VALU_DEP_1) | instskip(NEXT) | instid1(VALU_DEP_1)
	v_cmp_gt_u32_e64 s4, s38, v39
	s_and_saveexec_b32 s6, s4
	s_cbranch_execz .LBB20_12
; %bb.11:
	v_add_co_u32 v11, s5, 0x2000, v35
	s_delay_alu instid0(VALU_DEP_1)
	v_add_co_ci_u32_e64 v12, s5, 0, v36, s5
	global_load_b64 v[11:12], v[11:12], off offset:2048
.LBB20_12:
	;; [unrolled: 24-line block ×7, first 2 shown]
	s_or_b32 exec_lo, exec_lo, s16
	v_lshrrev_b32_e32 v1, 2, v1
	v_lshrrev_b32_e32 v2, 2, v2
	;; [unrolled: 1-line block ×5, first 2 shown]
	v_and_b32_e32 v1, 0x78, v1
	v_lshrrev_b32_e32 v38, 2, v39
	v_and_b32_e32 v2, 0xf8, v2
	v_and_b32_e32 v35, 56, v35
	s_mov_b32 s16, exec_lo
	v_add_nc_u32_e32 v55, v1, v53
	v_and_b32_e32 v1, 0xf8, v36
	v_add_nc_u32_e32 v56, v2, v53
	v_and_b32_e32 v2, 0x1f8, v38
	v_add_nc_u32_e32 v54, v35, v53
	s_waitcnt vmcnt(0)
	ds_store_b64 v54, v[33:34]
	ds_store_b64 v55, v[3:4] offset:2048
	v_add_nc_u32_e32 v57, v1, v53
	v_lshrrev_b32_e32 v1, 2, v40
	v_add_nc_u32_e32 v59, v2, v53
	v_lshrrev_b32_e32 v2, 2, v41
	v_lshrrev_b32_e32 v3, 2, v42
	;; [unrolled: 1-line block ×3, first 2 shown]
	v_and_b32_e32 v1, 0x1f8, v1
	v_and_b32_e32 v35, 0x1f8, v37
	ds_store_b64 v56, v[5:6] offset:4096
	v_and_b32_e32 v3, 0x3f8, v3
	v_and_b32_e32 v4, 0x3f8, v4
	v_add_nc_u32_e32 v60, v1, v53
	v_and_b32_e32 v1, 0x1f8, v2
	v_lshrrev_b32_e32 v2, 2, v44
	v_add_nc_u32_e32 v62, v3, v53
	v_lshrrev_b32_e32 v3, 2, v47
	v_add_nc_u32_e32 v63, v4, v53
	v_add_nc_u32_e32 v61, v1, v53
	v_and_b32_e32 v1, 0x3f8, v2
	v_lshrrev_b32_e32 v2, 2, v45
	v_and_b32_e32 v3, 0x3f8, v3
	v_lshrrev_b32_e32 v4, 2, v48
	v_add_nc_u32_e32 v58, v35, v53
	v_add_nc_u32_e32 v64, v1, v53
	v_and_b32_e32 v1, 0x3f8, v2
	v_lshrrev_b32_e32 v2, 2, v46
	v_add_nc_u32_e32 v67, v3, v53
	v_lshrrev_b32_e32 v3, 1, v0
	v_and_b32_e32 v4, 0x3f8, v4
	v_add_nc_u32_e32 v65, v1, v53
	v_and_b32_e32 v1, 0x3f8, v2
	v_lshrrev_b32_e32 v2, 2, v49
	ds_store_b64 v57, v[7:8] offset:6144
	ds_store_b64 v58, v[9:10] offset:8192
	v_add_nc_u32_e32 v68, v4, v53
	ds_store_b64 v59, v[11:12] offset:10240
	v_add_nc_u32_e32 v66, v1, v53
	v_and_b32_e32 v1, 0x3f8, v2
	v_lshlrev_b32_e32 v2, 4, v0
	ds_store_b64 v60, v[13:14] offset:12288
	ds_store_b64 v61, v[15:16] offset:14336
	;; [unrolled: 1-line block ×4, first 2 shown]
	v_add_nc_u32_e32 v69, v1, v53
	v_add_lshl_u32 v70, v3, v2, 3
	ds_store_b64 v64, v[21:22] offset:20480
	ds_store_b64 v65, v[23:24] offset:22528
	;; [unrolled: 1-line block ×6, first 2 shown]
	s_waitcnt lgkmcnt(0)
	s_barrier
	buffer_gl0_inv
	ds_load_2addr_b64 v[1:4], v70 offset1:1
	ds_load_2addr_b64 v[5:8], v70 offset0:2 offset1:3
	ds_load_2addr_b64 v[9:12], v70 offset0:4 offset1:5
	;; [unrolled: 1-line block ×6, first 2 shown]
	s_waitcnt lgkmcnt(6)
	v_add_co_u32 v13, s15, v3, v1
	s_delay_alu instid0(VALU_DEP_1) | instskip(SKIP_1) | instid1(VALU_DEP_2)
	v_add_co_ci_u32_e64 v14, s15, v4, v2, s15
	s_waitcnt lgkmcnt(5)
	v_add_co_u32 v13, s15, v13, v5
	s_delay_alu instid0(VALU_DEP_1) | instskip(NEXT) | instid1(VALU_DEP_2)
	v_add_co_ci_u32_e64 v14, s15, v14, v6, s15
	v_add_co_u32 v13, s15, v13, v7
	s_delay_alu instid0(VALU_DEP_1) | instskip(SKIP_1) | instid1(VALU_DEP_2)
	v_add_co_ci_u32_e64 v14, s15, v14, v8, s15
	s_waitcnt lgkmcnt(4)
	v_add_co_u32 v13, s15, v13, v9
	s_delay_alu instid0(VALU_DEP_1) | instskip(NEXT) | instid1(VALU_DEP_2)
	v_add_co_ci_u32_e64 v14, s15, v14, v10, s15
	;; [unrolled: 7-line block ×4, first 2 shown]
	v_add_co_u32 v33, s15, v13, v31
	s_delay_alu instid0(VALU_DEP_1) | instskip(SKIP_3) | instid1(VALU_DEP_1)
	v_add_co_ci_u32_e64 v34, s15, v14, v32, s15
	ds_load_2addr_b64 v[13:16], v70 offset0:14 offset1:15
	s_waitcnt lgkmcnt(2)
	v_add_co_u32 v33, s15, v33, v21
	v_add_co_ci_u32_e64 v34, s15, v34, v22, s15
	s_waitcnt lgkmcnt(0)
	s_delay_alu instid0(VALU_DEP_2) | instskip(NEXT) | instid1(VALU_DEP_1)
	v_add_co_u32 v33, s15, v33, v23
	v_add_co_ci_u32_e64 v34, s15, v34, v24, s15
	s_barrier
	s_delay_alu instid0(VALU_DEP_2) | instskip(NEXT) | instid1(VALU_DEP_1)
	v_add_co_u32 v33, s15, v33, v17
	v_add_co_ci_u32_e64 v34, s15, v34, v18, s15
	buffer_gl0_inv
	v_add_co_u32 v33, s15, v33, v19
	s_delay_alu instid0(VALU_DEP_1) | instskip(NEXT) | instid1(VALU_DEP_2)
	v_add_co_ci_u32_e64 v34, s15, v34, v20, s15
	v_add_co_u32 v33, s15, v33, v13
	s_delay_alu instid0(VALU_DEP_1) | instskip(NEXT) | instid1(VALU_DEP_2)
	v_add_co_ci_u32_e64 v34, s15, v34, v14, s15
	v_add_co_u32 v15, s15, v33, v15
	s_delay_alu instid0(VALU_DEP_1)
	v_add_co_ci_u32_e64 v16, s15, v34, v16, s15
	ds_store_b64 v54, v[15:16]
	s_waitcnt lgkmcnt(0)
	s_barrier
	buffer_gl0_inv
	v_cmpx_gt_u32_e32 32, v0
	s_cbranch_execz .LBB20_42
; %bb.33:
	v_lshlrev_b32_e32 v33, 1, v0
	v_mbcnt_lo_u32_b32 v72, -1, 0
	s_mov_b32 s17, exec_lo
	s_delay_alu instid0(VALU_DEP_2) | instskip(NEXT) | instid1(VALU_DEP_2)
	v_and_b32_e32 v33, 0x1f8, v33
	v_and_b32_e32 v73, 15, v72
	s_delay_alu instid0(VALU_DEP_2)
	v_lshl_or_b32 v71, v0, 6, v33
	ds_load_2addr_b64 v[33:36], v71 offset1:1
	ds_load_2addr_b64 v[37:40], v71 offset0:2 offset1:3
	ds_load_2addr_b64 v[41:44], v71 offset0:4 offset1:5
	ds_load_2addr_b64 v[45:48], v71 offset0:6 offset1:7
	s_waitcnt lgkmcnt(3)
	v_add_co_u32 v49, s15, v35, v33
	s_delay_alu instid0(VALU_DEP_1) | instskip(SKIP_1) | instid1(VALU_DEP_2)
	v_add_co_ci_u32_e64 v50, s15, v36, v34, s15
	s_waitcnt lgkmcnt(2)
	v_add_co_u32 v49, s15, v49, v37
	s_delay_alu instid0(VALU_DEP_1) | instskip(NEXT) | instid1(VALU_DEP_2)
	v_add_co_ci_u32_e64 v50, s15, v50, v38, s15
	v_add_co_u32 v49, s15, v49, v39
	s_delay_alu instid0(VALU_DEP_1) | instskip(SKIP_1) | instid1(VALU_DEP_2)
	v_add_co_ci_u32_e64 v50, s15, v50, v40, s15
	s_waitcnt lgkmcnt(1)
	v_add_co_u32 v49, s15, v49, v41
	s_delay_alu instid0(VALU_DEP_1) | instskip(NEXT) | instid1(VALU_DEP_2)
	v_add_co_ci_u32_e64 v50, s15, v50, v42, s15
	;; [unrolled: 7-line block ×3, first 2 shown]
	v_add_co_u32 v49, s15, v49, v47
	s_delay_alu instid0(VALU_DEP_1) | instskip(NEXT) | instid1(VALU_DEP_2)
	v_add_co_ci_u32_e64 v50, s15, v50, v48, s15
	v_mov_b32_dpp v75, v49 row_shr:1 row_mask:0xf bank_mask:0xf
	s_delay_alu instid0(VALU_DEP_2)
	v_mov_b32_e32 v52, v50
	v_mov_b32_dpp v74, v50 row_shr:1 row_mask:0xf bank_mask:0xf
	v_mov_b32_e32 v51, v49
	v_cmpx_ne_u32_e32 0, v73
; %bb.34:
	v_add_co_u32 v49, s15, v49, v75
	s_delay_alu instid0(VALU_DEP_1) | instskip(NEXT) | instid1(VALU_DEP_2)
	v_add_co_ci_u32_e64 v50, s15, 0, v50, s15
	v_add_co_u32 v51, s15, 0, v49
	s_delay_alu instid0(VALU_DEP_1) | instskip(NEXT) | instid1(VALU_DEP_1)
	v_add_co_ci_u32_e64 v52, s15, v74, v50, s15
	v_mov_b32_e32 v50, v52
; %bb.35:
	s_or_b32 exec_lo, exec_lo, s17
	v_mov_b32_dpp v75, v49 row_shr:2 row_mask:0xf bank_mask:0xf
	s_delay_alu instid0(VALU_DEP_2)
	v_mov_b32_dpp v74, v50 row_shr:2 row_mask:0xf bank_mask:0xf
	s_mov_b32 s17, exec_lo
	v_cmpx_lt_u32_e32 1, v73
; %bb.36:
	s_delay_alu instid0(VALU_DEP_3) | instskip(NEXT) | instid1(VALU_DEP_1)
	v_add_co_u32 v49, s15, v51, v75
	v_add_co_ci_u32_e64 v50, s15, 0, v52, s15
	s_delay_alu instid0(VALU_DEP_2) | instskip(NEXT) | instid1(VALU_DEP_1)
	v_add_co_u32 v51, s15, 0, v49
	v_add_co_ci_u32_e64 v52, s15, v74, v50, s15
	s_delay_alu instid0(VALU_DEP_1)
	v_mov_b32_e32 v50, v52
; %bb.37:
	s_or_b32 exec_lo, exec_lo, s17
	v_mov_b32_dpp v75, v49 row_shr:4 row_mask:0xf bank_mask:0xf
	s_delay_alu instid0(VALU_DEP_2)
	v_mov_b32_dpp v74, v50 row_shr:4 row_mask:0xf bank_mask:0xf
	s_mov_b32 s17, exec_lo
	v_cmpx_lt_u32_e32 3, v73
; %bb.38:
	s_delay_alu instid0(VALU_DEP_3) | instskip(NEXT) | instid1(VALU_DEP_1)
	v_add_co_u32 v49, s15, v51, v75
	v_add_co_ci_u32_e64 v50, s15, 0, v52, s15
	s_delay_alu instid0(VALU_DEP_2) | instskip(NEXT) | instid1(VALU_DEP_1)
	v_add_co_u32 v51, s15, 0, v49
	v_add_co_ci_u32_e64 v52, s15, v74, v50, s15
	s_delay_alu instid0(VALU_DEP_1)
	;; [unrolled: 16-line block ×3, first 2 shown]
	v_mov_b32_e32 v50, v52
; %bb.41:
	s_or_b32 exec_lo, exec_lo, s17
	ds_swizzle_b32 v73, v49 offset:swizzle(BROADCAST,32,15)
	ds_swizzle_b32 v74, v50 offset:swizzle(BROADCAST,32,15)
	v_add_nc_u32_e32 v75, -1, v72
	v_and_b32_e32 v76, 16, v72
	s_delay_alu instid0(VALU_DEP_2) | instskip(NEXT) | instid1(VALU_DEP_1)
	v_cmp_gt_i32_e64 s15, 0, v75
	v_cndmask_b32_e64 v72, v75, v72, s15
	s_delay_alu instid0(VALU_DEP_1) | instskip(SKIP_2) | instid1(VALU_DEP_1)
	v_lshlrev_b32_e32 v72, 2, v72
	s_waitcnt lgkmcnt(1)
	v_add_co_u32 v51, s15, v51, v73
	v_add_co_ci_u32_e64 v52, s15, 0, v52, s15
	v_cmp_eq_u32_e64 s15, 0, v76
	s_delay_alu instid0(VALU_DEP_1) | instskip(SKIP_1) | instid1(VALU_DEP_3)
	v_cndmask_b32_e64 v49, v51, v49, s15
	s_waitcnt lgkmcnt(0)
	v_add_nc_u32_e32 v51, v74, v52
	ds_bpermute_b32 v49, v72, v49
	v_cndmask_b32_e64 v50, v51, v50, s15
	ds_bpermute_b32 v50, v72, v50
	s_waitcnt lgkmcnt(1)
	v_add_co_u32 v33, s15, v33, v49
	s_delay_alu instid0(VALU_DEP_1) | instskip(NEXT) | instid1(VALU_DEP_2)
	v_add_co_ci_u32_e64 v34, s15, 0, v34, s15
	v_add_co_u32 v33, s15, v33, 0
	s_waitcnt lgkmcnt(0)
	s_delay_alu instid0(VALU_DEP_2) | instskip(SKIP_1) | instid1(VALU_DEP_1)
	v_add_co_ci_u32_e64 v34, s15, v34, v50, s15
	v_cmp_eq_u32_e64 s15, 0, v0
	v_cndmask_b32_e64 v15, v33, v15, s15
	s_delay_alu instid0(VALU_DEP_3) | instskip(NEXT) | instid1(VALU_DEP_2)
	v_cndmask_b32_e64 v16, v34, v16, s15
	v_add_co_u32 v33, s15, v15, v35
	s_delay_alu instid0(VALU_DEP_1) | instskip(NEXT) | instid1(VALU_DEP_2)
	v_add_co_ci_u32_e64 v34, s15, v16, v36, s15
	v_add_co_u32 v35, s15, v33, v37
	s_delay_alu instid0(VALU_DEP_1) | instskip(NEXT) | instid1(VALU_DEP_2)
	v_add_co_ci_u32_e64 v36, s15, v34, v38, s15
	;; [unrolled: 3-line block ×6, first 2 shown]
	v_add_co_u32 v45, s15, v43, v47
	s_delay_alu instid0(VALU_DEP_1)
	v_add_co_ci_u32_e64 v46, s15, v44, v48, s15
	ds_store_2addr_b64 v71, v[15:16], v[33:34] offset1:1
	ds_store_2addr_b64 v71, v[35:36], v[37:38] offset0:2 offset1:3
	ds_store_2addr_b64 v71, v[39:40], v[41:42] offset0:4 offset1:5
	;; [unrolled: 1-line block ×3, first 2 shown]
.LBB20_42:
	s_or_b32 exec_lo, exec_lo, s16
	v_dual_mov_b32 v15, s40 :: v_dual_mov_b32 v16, s41
	s_mov_b32 s16, exec_lo
	s_waitcnt lgkmcnt(0)
	s_barrier
	buffer_gl0_inv
	v_cmpx_ne_u32_e32 0, v0
	s_cbranch_execz .LBB20_44
; %bb.43:
	v_add_nc_u32_e32 v0, -1, v0
	s_delay_alu instid0(VALU_DEP_1) | instskip(NEXT) | instid1(VALU_DEP_1)
	v_lshrrev_b32_e32 v15, 5, v0
	v_add_lshl_u32 v0, v15, v0, 3
	ds_load_b64 v[15:16], v0
	s_waitcnt lgkmcnt(0)
	v_add_co_u32 v15, s15, v15, s40
	s_delay_alu instid0(VALU_DEP_1)
	v_add_co_ci_u32_e64 v16, s15, s41, v16, s15
.LBB20_44:
	s_or_b32 exec_lo, exec_lo, s16
	s_delay_alu instid0(VALU_DEP_2) | instskip(NEXT) | instid1(VALU_DEP_1)
	v_add_co_u32 v0, s15, v15, v1
	v_add_co_ci_u32_e64 v1, s15, v16, v2, s15
	s_delay_alu instid0(VALU_DEP_2) | instskip(NEXT) | instid1(VALU_DEP_1)
	v_add_co_u32 v2, s15, v0, v3
	v_add_co_ci_u32_e64 v3, s15, v1, v4, s15
	s_barrier
	s_delay_alu instid0(VALU_DEP_2) | instskip(NEXT) | instid1(VALU_DEP_1)
	v_add_co_u32 v4, s15, v2, v5
	v_add_co_ci_u32_e64 v5, s15, v3, v6, s15
	buffer_gl0_inv
	v_add_co_u32 v6, s15, v4, v7
	s_delay_alu instid0(VALU_DEP_1) | instskip(SKIP_3) | instid1(VALU_DEP_1)
	v_add_co_ci_u32_e64 v7, s15, v5, v8, s15
	ds_store_2addr_b64 v70, v[15:16], v[0:1] offset1:1
	ds_store_2addr_b64 v70, v[2:3], v[4:5] offset0:2 offset1:3
	v_add_co_u32 v8, s15, v6, v9
	v_add_co_ci_u32_e64 v9, s15, v7, v10, s15
	s_delay_alu instid0(VALU_DEP_2) | instskip(NEXT) | instid1(VALU_DEP_1)
	v_add_co_u32 v10, s15, v8, v11
	v_add_co_ci_u32_e64 v11, s15, v9, v12, s15
	s_delay_alu instid0(VALU_DEP_2) | instskip(NEXT) | instid1(VALU_DEP_1)
	;; [unrolled: 3-line block ×10, first 2 shown]
	v_add_co_u32 v0, s15, v19, v13
	v_add_co_ci_u32_e64 v1, s15, v20, v14, s15
	ds_store_2addr_b64 v70, v[6:7], v[8:9] offset0:4 offset1:5
	ds_store_2addr_b64 v70, v[10:11], v[25:26] offset0:6 offset1:7
	;; [unrolled: 1-line block ×6, first 2 shown]
	s_waitcnt lgkmcnt(0)
	s_barrier
	buffer_gl0_inv
	ds_load_b64 v[30:31], v55 offset:2048
	ds_load_b64 v[28:29], v56 offset:4096
	;; [unrolled: 1-line block ×15, first 2 shown]
	v_add_co_u32 v2, s15, s42, v53
	s_delay_alu instid0(VALU_DEP_1)
	v_add_co_ci_u32_e64 v3, null, s43, 0, s15
	s_and_saveexec_b32 s15, vcc_lo
	s_cbranch_execnz .LBB20_61
; %bb.45:
	s_or_b32 exec_lo, exec_lo, s15
	s_and_saveexec_b32 s15, s0
	s_cbranch_execnz .LBB20_62
.LBB20_46:
	s_or_b32 exec_lo, exec_lo, s15
	s_and_saveexec_b32 s0, s1
	s_cbranch_execnz .LBB20_63
.LBB20_47:
	s_or_b32 exec_lo, exec_lo, s0
	s_and_saveexec_b32 s0, s2
	s_cbranch_execnz .LBB20_64
.LBB20_48:
	s_or_b32 exec_lo, exec_lo, s0
	s_and_saveexec_b32 s0, s3
	s_cbranch_execnz .LBB20_65
.LBB20_49:
	s_or_b32 exec_lo, exec_lo, s0
	s_and_saveexec_b32 s0, s4
	s_cbranch_execnz .LBB20_66
.LBB20_50:
	s_or_b32 exec_lo, exec_lo, s0
	s_and_saveexec_b32 s0, s5
	s_cbranch_execnz .LBB20_67
.LBB20_51:
	s_or_b32 exec_lo, exec_lo, s0
	s_and_saveexec_b32 s0, s6
	s_cbranch_execnz .LBB20_68
.LBB20_52:
	s_or_b32 exec_lo, exec_lo, s0
	s_and_saveexec_b32 s0, s7
	s_cbranch_execnz .LBB20_69
.LBB20_53:
	s_or_b32 exec_lo, exec_lo, s0
	s_and_saveexec_b32 s0, s8
	s_cbranch_execnz .LBB20_70
.LBB20_54:
	s_or_b32 exec_lo, exec_lo, s0
	s_and_saveexec_b32 s0, s9
	s_cbranch_execnz .LBB20_71
.LBB20_55:
	s_or_b32 exec_lo, exec_lo, s0
	s_and_saveexec_b32 s0, s10
	s_cbranch_execnz .LBB20_72
.LBB20_56:
	s_or_b32 exec_lo, exec_lo, s0
	s_and_saveexec_b32 s0, s11
	s_cbranch_execnz .LBB20_73
.LBB20_57:
	s_or_b32 exec_lo, exec_lo, s0
	s_and_saveexec_b32 s0, s12
	s_cbranch_execnz .LBB20_74
.LBB20_58:
	s_or_b32 exec_lo, exec_lo, s0
	s_and_saveexec_b32 s0, s13
	s_cbranch_execnz .LBB20_75
.LBB20_59:
	s_or_b32 exec_lo, exec_lo, s0
	s_and_saveexec_b32 s0, s14
	s_cbranch_execnz .LBB20_76
.LBB20_60:
	s_nop 0
	s_sendmsg sendmsg(MSG_DEALLOC_VGPRS)
	s_endpgm
.LBB20_61:
	ds_load_b64 v[32:33], v54
	s_waitcnt lgkmcnt(0)
	global_store_b64 v[2:3], v[32:33], off
	s_or_b32 exec_lo, exec_lo, s15
	s_and_saveexec_b32 s15, s0
	s_cbranch_execz .LBB20_46
.LBB20_62:
	s_waitcnt lgkmcnt(14)
	global_store_b64 v[2:3], v[30:31], off offset:2048
	s_or_b32 exec_lo, exec_lo, s15
	s_and_saveexec_b32 s0, s1
	s_cbranch_execz .LBB20_47
.LBB20_63:
	s_waitcnt lgkmcnt(14)
	v_add_co_u32 v30, vcc_lo, 0x1000, v2
	v_add_co_ci_u32_e32 v31, vcc_lo, 0, v3, vcc_lo
	s_waitcnt lgkmcnt(13)
	global_store_b64 v[30:31], v[28:29], off
	s_or_b32 exec_lo, exec_lo, s0
	s_and_saveexec_b32 s0, s2
	s_cbranch_execz .LBB20_48
.LBB20_64:
	s_waitcnt lgkmcnt(13)
	v_add_co_u32 v28, vcc_lo, 0x1000, v2
	v_add_co_ci_u32_e32 v29, vcc_lo, 0, v3, vcc_lo
	s_waitcnt lgkmcnt(12)
	global_store_b64 v[28:29], v[26:27], off offset:2048
	s_or_b32 exec_lo, exec_lo, s0
	s_and_saveexec_b32 s0, s3
	s_cbranch_execz .LBB20_49
.LBB20_65:
	s_waitcnt lgkmcnt(12)
	v_add_co_u32 v26, vcc_lo, 0x2000, v2
	v_add_co_ci_u32_e32 v27, vcc_lo, 0, v3, vcc_lo
	s_waitcnt lgkmcnt(11)
	global_store_b64 v[26:27], v[24:25], off
	s_or_b32 exec_lo, exec_lo, s0
	s_and_saveexec_b32 s0, s4
	s_cbranch_execz .LBB20_50
.LBB20_66:
	s_waitcnt lgkmcnt(11)
	v_add_co_u32 v24, vcc_lo, 0x2000, v2
	v_add_co_ci_u32_e32 v25, vcc_lo, 0, v3, vcc_lo
	s_waitcnt lgkmcnt(10)
	global_store_b64 v[24:25], v[22:23], off offset:2048
	s_or_b32 exec_lo, exec_lo, s0
	s_and_saveexec_b32 s0, s5
	s_cbranch_execz .LBB20_51
.LBB20_67:
	s_waitcnt lgkmcnt(10)
	v_add_co_u32 v22, vcc_lo, 0x3000, v2
	v_add_co_ci_u32_e32 v23, vcc_lo, 0, v3, vcc_lo
	s_waitcnt lgkmcnt(9)
	global_store_b64 v[22:23], v[20:21], off
	s_or_b32 exec_lo, exec_lo, s0
	s_and_saveexec_b32 s0, s6
	s_cbranch_execz .LBB20_52
.LBB20_68:
	s_waitcnt lgkmcnt(9)
	v_add_co_u32 v20, vcc_lo, 0x3000, v2
	v_add_co_ci_u32_e32 v21, vcc_lo, 0, v3, vcc_lo
	s_waitcnt lgkmcnt(8)
	global_store_b64 v[20:21], v[18:19], off offset:2048
	s_or_b32 exec_lo, exec_lo, s0
	s_and_saveexec_b32 s0, s7
	s_cbranch_execz .LBB20_53
.LBB20_69:
	s_waitcnt lgkmcnt(8)
	v_add_co_u32 v18, vcc_lo, 0x4000, v2
	v_add_co_ci_u32_e32 v19, vcc_lo, 0, v3, vcc_lo
	s_waitcnt lgkmcnt(7)
	global_store_b64 v[18:19], v[16:17], off
	s_or_b32 exec_lo, exec_lo, s0
	s_and_saveexec_b32 s0, s8
	s_cbranch_execz .LBB20_54
.LBB20_70:
	s_waitcnt lgkmcnt(7)
	v_add_co_u32 v16, vcc_lo, 0x4000, v2
	v_add_co_ci_u32_e32 v17, vcc_lo, 0, v3, vcc_lo
	s_waitcnt lgkmcnt(6)
	global_store_b64 v[16:17], v[14:15], off offset:2048
	s_or_b32 exec_lo, exec_lo, s0
	s_and_saveexec_b32 s0, s9
	s_cbranch_execz .LBB20_55
.LBB20_71:
	s_waitcnt lgkmcnt(6)
	v_add_co_u32 v14, vcc_lo, 0x5000, v2
	v_add_co_ci_u32_e32 v15, vcc_lo, 0, v3, vcc_lo
	s_waitcnt lgkmcnt(5)
	global_store_b64 v[14:15], v[12:13], off
	s_or_b32 exec_lo, exec_lo, s0
	s_and_saveexec_b32 s0, s10
	s_cbranch_execz .LBB20_56
.LBB20_72:
	s_waitcnt lgkmcnt(5)
	v_add_co_u32 v12, vcc_lo, 0x5000, v2
	v_add_co_ci_u32_e32 v13, vcc_lo, 0, v3, vcc_lo
	s_waitcnt lgkmcnt(4)
	global_store_b64 v[12:13], v[10:11], off offset:2048
	s_or_b32 exec_lo, exec_lo, s0
	s_and_saveexec_b32 s0, s11
	s_cbranch_execz .LBB20_57
.LBB20_73:
	s_waitcnt lgkmcnt(4)
	v_add_co_u32 v10, vcc_lo, 0x6000, v2
	v_add_co_ci_u32_e32 v11, vcc_lo, 0, v3, vcc_lo
	s_waitcnt lgkmcnt(3)
	global_store_b64 v[10:11], v[8:9], off
	s_or_b32 exec_lo, exec_lo, s0
	s_and_saveexec_b32 s0, s12
	s_cbranch_execz .LBB20_58
.LBB20_74:
	s_waitcnt lgkmcnt(3)
	v_add_co_u32 v8, vcc_lo, 0x6000, v2
	v_add_co_ci_u32_e32 v9, vcc_lo, 0, v3, vcc_lo
	s_waitcnt lgkmcnt(2)
	global_store_b64 v[8:9], v[6:7], off offset:2048
	s_or_b32 exec_lo, exec_lo, s0
	s_and_saveexec_b32 s0, s13
	s_cbranch_execz .LBB20_59
.LBB20_75:
	s_waitcnt lgkmcnt(2)
	v_add_co_u32 v6, vcc_lo, 0x7000, v2
	v_add_co_ci_u32_e32 v7, vcc_lo, 0, v3, vcc_lo
	s_waitcnt lgkmcnt(1)
	global_store_b64 v[6:7], v[4:5], off
	s_or_b32 exec_lo, exec_lo, s0
	s_and_saveexec_b32 s0, s14
	s_cbranch_execz .LBB20_60
.LBB20_76:
	v_add_co_u32 v2, vcc_lo, 0x7000, v2
	v_add_co_ci_u32_e32 v3, vcc_lo, 0, v3, vcc_lo
	s_waitcnt lgkmcnt(0)
	global_store_b64 v[2:3], v[0:1], off offset:2048
	s_nop 0
	s_sendmsg sendmsg(MSG_DEALLOC_VGPRS)
	s_endpgm
	.section	.rodata,"a",@progbits
	.p2align	6, 0x0
	.amdhsa_kernel _ZN7rocprim17ROCPRIM_304000_NS6detail18single_scan_kernelILb1ENS1_19wrapped_scan_configINS0_14default_configElEEPKlPlN2at4cuda3cub12_GLOBAL__N_15SumOpIlEEllEEvT1_mT4_T2_T3_
		.amdhsa_group_segment_fixed_size 33792
		.amdhsa_private_segment_fixed_size 0
		.amdhsa_kernarg_size 36
		.amdhsa_user_sgpr_count 15
		.amdhsa_user_sgpr_dispatch_ptr 0
		.amdhsa_user_sgpr_queue_ptr 0
		.amdhsa_user_sgpr_kernarg_segment_ptr 1
		.amdhsa_user_sgpr_dispatch_id 0
		.amdhsa_user_sgpr_private_segment_size 0
		.amdhsa_wavefront_size32 1
		.amdhsa_uses_dynamic_stack 0
		.amdhsa_enable_private_segment 0
		.amdhsa_system_sgpr_workgroup_id_x 1
		.amdhsa_system_sgpr_workgroup_id_y 0
		.amdhsa_system_sgpr_workgroup_id_z 0
		.amdhsa_system_sgpr_workgroup_info 0
		.amdhsa_system_vgpr_workitem_id 0
		.amdhsa_next_free_vgpr 77
		.amdhsa_next_free_sgpr 44
		.amdhsa_reserve_vcc 1
		.amdhsa_float_round_mode_32 0
		.amdhsa_float_round_mode_16_64 0
		.amdhsa_float_denorm_mode_32 3
		.amdhsa_float_denorm_mode_16_64 3
		.amdhsa_dx10_clamp 1
		.amdhsa_ieee_mode 1
		.amdhsa_fp16_overflow 0
		.amdhsa_workgroup_processor_mode 1
		.amdhsa_memory_ordered 1
		.amdhsa_forward_progress 0
		.amdhsa_shared_vgpr_count 0
		.amdhsa_exception_fp_ieee_invalid_op 0
		.amdhsa_exception_fp_denorm_src 0
		.amdhsa_exception_fp_ieee_div_zero 0
		.amdhsa_exception_fp_ieee_overflow 0
		.amdhsa_exception_fp_ieee_underflow 0
		.amdhsa_exception_fp_ieee_inexact 0
		.amdhsa_exception_int_div_zero 0
	.end_amdhsa_kernel
	.section	.text._ZN7rocprim17ROCPRIM_304000_NS6detail18single_scan_kernelILb1ENS1_19wrapped_scan_configINS0_14default_configElEEPKlPlN2at4cuda3cub12_GLOBAL__N_15SumOpIlEEllEEvT1_mT4_T2_T3_,"axG",@progbits,_ZN7rocprim17ROCPRIM_304000_NS6detail18single_scan_kernelILb1ENS1_19wrapped_scan_configINS0_14default_configElEEPKlPlN2at4cuda3cub12_GLOBAL__N_15SumOpIlEEllEEvT1_mT4_T2_T3_,comdat
.Lfunc_end20:
	.size	_ZN7rocprim17ROCPRIM_304000_NS6detail18single_scan_kernelILb1ENS1_19wrapped_scan_configINS0_14default_configElEEPKlPlN2at4cuda3cub12_GLOBAL__N_15SumOpIlEEllEEvT1_mT4_T2_T3_, .Lfunc_end20-_ZN7rocprim17ROCPRIM_304000_NS6detail18single_scan_kernelILb1ENS1_19wrapped_scan_configINS0_14default_configElEEPKlPlN2at4cuda3cub12_GLOBAL__N_15SumOpIlEEllEEvT1_mT4_T2_T3_
                                        ; -- End function
	.section	.AMDGPU.csdata,"",@progbits
; Kernel info:
; codeLenInByte = 4664
; NumSgprs: 46
; NumVgprs: 77
; ScratchSize: 0
; MemoryBound: 1
; FloatMode: 240
; IeeeMode: 1
; LDSByteSize: 33792 bytes/workgroup (compile time only)
; SGPRBlocks: 5
; VGPRBlocks: 9
; NumSGPRsForWavesPerEU: 46
; NumVGPRsForWavesPerEU: 77
; Occupancy: 6
; WaveLimiterHint : 0
; COMPUTE_PGM_RSRC2:SCRATCH_EN: 0
; COMPUTE_PGM_RSRC2:USER_SGPR: 15
; COMPUTE_PGM_RSRC2:TRAP_HANDLER: 0
; COMPUTE_PGM_RSRC2:TGID_X_EN: 1
; COMPUTE_PGM_RSRC2:TGID_Y_EN: 0
; COMPUTE_PGM_RSRC2:TGID_Z_EN: 0
; COMPUTE_PGM_RSRC2:TIDIG_COMP_CNT: 0
	.section	.text._ZN7rocprim17ROCPRIM_304000_NS6detail20lookback_scan_kernelILNS1_25lookback_scan_determinismE0ELb1ENS1_19wrapped_scan_configINS0_14default_configElEEN6hipcub22TransformInputIteratorIbN2at4cuda3cub12_GLOBAL__N_111CountMaskOpEPKhlEEPlNSC_5SumOpIlEEllNS1_19lookback_scan_stateIlLb1ELb1EEEEEvT2_T3_mT5_T4_T7_jPT6_SS_bb,"axG",@progbits,_ZN7rocprim17ROCPRIM_304000_NS6detail20lookback_scan_kernelILNS1_25lookback_scan_determinismE0ELb1ENS1_19wrapped_scan_configINS0_14default_configElEEN6hipcub22TransformInputIteratorIbN2at4cuda3cub12_GLOBAL__N_111CountMaskOpEPKhlEEPlNSC_5SumOpIlEEllNS1_19lookback_scan_stateIlLb1ELb1EEEEEvT2_T3_mT5_T4_T7_jPT6_SS_bb,comdat
	.globl	_ZN7rocprim17ROCPRIM_304000_NS6detail20lookback_scan_kernelILNS1_25lookback_scan_determinismE0ELb1ENS1_19wrapped_scan_configINS0_14default_configElEEN6hipcub22TransformInputIteratorIbN2at4cuda3cub12_GLOBAL__N_111CountMaskOpEPKhlEEPlNSC_5SumOpIlEEllNS1_19lookback_scan_stateIlLb1ELb1EEEEEvT2_T3_mT5_T4_T7_jPT6_SS_bb ; -- Begin function _ZN7rocprim17ROCPRIM_304000_NS6detail20lookback_scan_kernelILNS1_25lookback_scan_determinismE0ELb1ENS1_19wrapped_scan_configINS0_14default_configElEEN6hipcub22TransformInputIteratorIbN2at4cuda3cub12_GLOBAL__N_111CountMaskOpEPKhlEEPlNSC_5SumOpIlEEllNS1_19lookback_scan_stateIlLb1ELb1EEEEEvT2_T3_mT5_T4_T7_jPT6_SS_bb
	.p2align	8
	.type	_ZN7rocprim17ROCPRIM_304000_NS6detail20lookback_scan_kernelILNS1_25lookback_scan_determinismE0ELb1ENS1_19wrapped_scan_configINS0_14default_configElEEN6hipcub22TransformInputIteratorIbN2at4cuda3cub12_GLOBAL__N_111CountMaskOpEPKhlEEPlNSC_5SumOpIlEEllNS1_19lookback_scan_stateIlLb1ELb1EEEEEvT2_T3_mT5_T4_T7_jPT6_SS_bb,@function
_ZN7rocprim17ROCPRIM_304000_NS6detail20lookback_scan_kernelILNS1_25lookback_scan_determinismE0ELb1ENS1_19wrapped_scan_configINS0_14default_configElEEN6hipcub22TransformInputIteratorIbN2at4cuda3cub12_GLOBAL__N_111CountMaskOpEPKhlEEPlNSC_5SumOpIlEEllNS1_19lookback_scan_stateIlLb1ELb1EEEEEvT2_T3_mT5_T4_T7_jPT6_SS_bb: ; @_ZN7rocprim17ROCPRIM_304000_NS6detail20lookback_scan_kernelILNS1_25lookback_scan_determinismE0ELb1ENS1_19wrapped_scan_configINS0_14default_configElEEN6hipcub22TransformInputIteratorIbN2at4cuda3cub12_GLOBAL__N_111CountMaskOpEPKhlEEPlNSC_5SumOpIlEEllNS1_19lookback_scan_stateIlLb1ELb1EEEEEvT2_T3_mT5_T4_T7_jPT6_SS_bb
; %bb.0:
	s_endpgm
	.section	.rodata,"a",@progbits
	.p2align	6, 0x0
	.amdhsa_kernel _ZN7rocprim17ROCPRIM_304000_NS6detail20lookback_scan_kernelILNS1_25lookback_scan_determinismE0ELb1ENS1_19wrapped_scan_configINS0_14default_configElEEN6hipcub22TransformInputIteratorIbN2at4cuda3cub12_GLOBAL__N_111CountMaskOpEPKhlEEPlNSC_5SumOpIlEEllNS1_19lookback_scan_stateIlLb1ELb1EEEEEvT2_T3_mT5_T4_T7_jPT6_SS_bb
		.amdhsa_group_segment_fixed_size 0
		.amdhsa_private_segment_fixed_size 0
		.amdhsa_kernarg_size 84
		.amdhsa_user_sgpr_count 15
		.amdhsa_user_sgpr_dispatch_ptr 0
		.amdhsa_user_sgpr_queue_ptr 0
		.amdhsa_user_sgpr_kernarg_segment_ptr 1
		.amdhsa_user_sgpr_dispatch_id 0
		.amdhsa_user_sgpr_private_segment_size 0
		.amdhsa_wavefront_size32 1
		.amdhsa_uses_dynamic_stack 0
		.amdhsa_enable_private_segment 0
		.amdhsa_system_sgpr_workgroup_id_x 1
		.amdhsa_system_sgpr_workgroup_id_y 0
		.amdhsa_system_sgpr_workgroup_id_z 0
		.amdhsa_system_sgpr_workgroup_info 0
		.amdhsa_system_vgpr_workitem_id 0
		.amdhsa_next_free_vgpr 1
		.amdhsa_next_free_sgpr 1
		.amdhsa_reserve_vcc 0
		.amdhsa_float_round_mode_32 0
		.amdhsa_float_round_mode_16_64 0
		.amdhsa_float_denorm_mode_32 3
		.amdhsa_float_denorm_mode_16_64 3
		.amdhsa_dx10_clamp 1
		.amdhsa_ieee_mode 1
		.amdhsa_fp16_overflow 0
		.amdhsa_workgroup_processor_mode 1
		.amdhsa_memory_ordered 1
		.amdhsa_forward_progress 0
		.amdhsa_shared_vgpr_count 0
		.amdhsa_exception_fp_ieee_invalid_op 0
		.amdhsa_exception_fp_denorm_src 0
		.amdhsa_exception_fp_ieee_div_zero 0
		.amdhsa_exception_fp_ieee_overflow 0
		.amdhsa_exception_fp_ieee_underflow 0
		.amdhsa_exception_fp_ieee_inexact 0
		.amdhsa_exception_int_div_zero 0
	.end_amdhsa_kernel
	.section	.text._ZN7rocprim17ROCPRIM_304000_NS6detail20lookback_scan_kernelILNS1_25lookback_scan_determinismE0ELb1ENS1_19wrapped_scan_configINS0_14default_configElEEN6hipcub22TransformInputIteratorIbN2at4cuda3cub12_GLOBAL__N_111CountMaskOpEPKhlEEPlNSC_5SumOpIlEEllNS1_19lookback_scan_stateIlLb1ELb1EEEEEvT2_T3_mT5_T4_T7_jPT6_SS_bb,"axG",@progbits,_ZN7rocprim17ROCPRIM_304000_NS6detail20lookback_scan_kernelILNS1_25lookback_scan_determinismE0ELb1ENS1_19wrapped_scan_configINS0_14default_configElEEN6hipcub22TransformInputIteratorIbN2at4cuda3cub12_GLOBAL__N_111CountMaskOpEPKhlEEPlNSC_5SumOpIlEEllNS1_19lookback_scan_stateIlLb1ELb1EEEEEvT2_T3_mT5_T4_T7_jPT6_SS_bb,comdat
.Lfunc_end21:
	.size	_ZN7rocprim17ROCPRIM_304000_NS6detail20lookback_scan_kernelILNS1_25lookback_scan_determinismE0ELb1ENS1_19wrapped_scan_configINS0_14default_configElEEN6hipcub22TransformInputIteratorIbN2at4cuda3cub12_GLOBAL__N_111CountMaskOpEPKhlEEPlNSC_5SumOpIlEEllNS1_19lookback_scan_stateIlLb1ELb1EEEEEvT2_T3_mT5_T4_T7_jPT6_SS_bb, .Lfunc_end21-_ZN7rocprim17ROCPRIM_304000_NS6detail20lookback_scan_kernelILNS1_25lookback_scan_determinismE0ELb1ENS1_19wrapped_scan_configINS0_14default_configElEEN6hipcub22TransformInputIteratorIbN2at4cuda3cub12_GLOBAL__N_111CountMaskOpEPKhlEEPlNSC_5SumOpIlEEllNS1_19lookback_scan_stateIlLb1ELb1EEEEEvT2_T3_mT5_T4_T7_jPT6_SS_bb
                                        ; -- End function
	.section	.AMDGPU.csdata,"",@progbits
; Kernel info:
; codeLenInByte = 4
; NumSgprs: 0
; NumVgprs: 0
; ScratchSize: 0
; MemoryBound: 0
; FloatMode: 240
; IeeeMode: 1
; LDSByteSize: 0 bytes/workgroup (compile time only)
; SGPRBlocks: 0
; VGPRBlocks: 0
; NumSGPRsForWavesPerEU: 1
; NumVGPRsForWavesPerEU: 1
; Occupancy: 16
; WaveLimiterHint : 0
; COMPUTE_PGM_RSRC2:SCRATCH_EN: 0
; COMPUTE_PGM_RSRC2:USER_SGPR: 15
; COMPUTE_PGM_RSRC2:TRAP_HANDLER: 0
; COMPUTE_PGM_RSRC2:TGID_X_EN: 1
; COMPUTE_PGM_RSRC2:TGID_Y_EN: 0
; COMPUTE_PGM_RSRC2:TGID_Z_EN: 0
; COMPUTE_PGM_RSRC2:TIDIG_COMP_CNT: 0
	.section	.text._ZN7rocprim17ROCPRIM_304000_NS6detail20lookback_scan_kernelILNS1_25lookback_scan_determinismE0ELb1ENS1_19wrapped_scan_configINS0_14default_configElEEN6hipcub22TransformInputIteratorIbN2at4cuda3cub12_GLOBAL__N_111CountMaskOpEPKhlEEPlNSC_5SumOpIlEEllNS1_19lookback_scan_stateIlLb0ELb1EEEEEvT2_T3_mT5_T4_T7_jPT6_SS_bb,"axG",@progbits,_ZN7rocprim17ROCPRIM_304000_NS6detail20lookback_scan_kernelILNS1_25lookback_scan_determinismE0ELb1ENS1_19wrapped_scan_configINS0_14default_configElEEN6hipcub22TransformInputIteratorIbN2at4cuda3cub12_GLOBAL__N_111CountMaskOpEPKhlEEPlNSC_5SumOpIlEEllNS1_19lookback_scan_stateIlLb0ELb1EEEEEvT2_T3_mT5_T4_T7_jPT6_SS_bb,comdat
	.globl	_ZN7rocprim17ROCPRIM_304000_NS6detail20lookback_scan_kernelILNS1_25lookback_scan_determinismE0ELb1ENS1_19wrapped_scan_configINS0_14default_configElEEN6hipcub22TransformInputIteratorIbN2at4cuda3cub12_GLOBAL__N_111CountMaskOpEPKhlEEPlNSC_5SumOpIlEEllNS1_19lookback_scan_stateIlLb0ELb1EEEEEvT2_T3_mT5_T4_T7_jPT6_SS_bb ; -- Begin function _ZN7rocprim17ROCPRIM_304000_NS6detail20lookback_scan_kernelILNS1_25lookback_scan_determinismE0ELb1ENS1_19wrapped_scan_configINS0_14default_configElEEN6hipcub22TransformInputIteratorIbN2at4cuda3cub12_GLOBAL__N_111CountMaskOpEPKhlEEPlNSC_5SumOpIlEEllNS1_19lookback_scan_stateIlLb0ELb1EEEEEvT2_T3_mT5_T4_T7_jPT6_SS_bb
	.p2align	8
	.type	_ZN7rocprim17ROCPRIM_304000_NS6detail20lookback_scan_kernelILNS1_25lookback_scan_determinismE0ELb1ENS1_19wrapped_scan_configINS0_14default_configElEEN6hipcub22TransformInputIteratorIbN2at4cuda3cub12_GLOBAL__N_111CountMaskOpEPKhlEEPlNSC_5SumOpIlEEllNS1_19lookback_scan_stateIlLb0ELb1EEEEEvT2_T3_mT5_T4_T7_jPT6_SS_bb,@function
_ZN7rocprim17ROCPRIM_304000_NS6detail20lookback_scan_kernelILNS1_25lookback_scan_determinismE0ELb1ENS1_19wrapped_scan_configINS0_14default_configElEEN6hipcub22TransformInputIteratorIbN2at4cuda3cub12_GLOBAL__N_111CountMaskOpEPKhlEEPlNSC_5SumOpIlEEllNS1_19lookback_scan_stateIlLb0ELb1EEEEEvT2_T3_mT5_T4_T7_jPT6_SS_bb: ; @_ZN7rocprim17ROCPRIM_304000_NS6detail20lookback_scan_kernelILNS1_25lookback_scan_determinismE0ELb1ENS1_19wrapped_scan_configINS0_14default_configElEEN6hipcub22TransformInputIteratorIbN2at4cuda3cub12_GLOBAL__N_111CountMaskOpEPKhlEEPlNSC_5SumOpIlEEllNS1_19lookback_scan_stateIlLb0ELb1EEEEEvT2_T3_mT5_T4_T7_jPT6_SS_bb
; %bb.0:
	s_clause 0x3
	s_load_b32 s2, s[0:1], 0x38
	s_load_b64 s[18:19], s[0:1], 0x20
	s_load_b128 s[4:7], s[0:1], 0x10
	s_load_b64 s[16:17], s[0:1], 0x0
	s_lshl_b32 s12, s15, 12
	v_lshrrev_b32_e32 v35, 2, v0
	v_lshlrev_b32_e32 v82, 3, v0
	v_or_b32_e32 v81, 0x100, v0
	v_or_b32_e32 v80, 0x200, v0
	;; [unrolled: 1-line block ×13, first 2 shown]
	s_waitcnt lgkmcnt(0)
	s_add_i32 s2, s2, -1
	v_or_b32_e32 v68, 0xe00, v0
	s_lshl_b32 s8, s2, 12
	v_or_b32_e32 v67, 0xf00, v0
	s_sub_u32 s14, s6, s8
	s_subb_u32 s20, s7, 0
	s_cmp_lg_u32 s15, s2
	s_mov_b32 s3, -1
	s_cselect_b32 s21, -1, 0
	s_add_u32 s6, s16, s12
	s_addc_u32 s7, s17, 0
	s_and_b32 vcc_lo, exec_lo, s21
	s_mov_b32 s13, 0
	s_cbranch_vccz .LBB22_2
; %bb.1:
	s_clause 0xf
	global_load_u8 v1, v0, s[6:7]
	global_load_u8 v3, v0, s[6:7] offset:256
	global_load_u8 v5, v0, s[6:7] offset:512
	;; [unrolled: 1-line block ×15, first 2 shown]
	v_lshrrev_b32_e32 v34, 2, v81
	v_lshrrev_b32_e32 v36, 2, v80
	;; [unrolled: 1-line block ×4, first 2 shown]
	v_dual_mov_b32 v2, s13 :: v_dual_and_b32 v33, 56, v35
	v_lshrrev_b32_e32 v39, 2, v77
	v_lshrrev_b32_e32 v40, 2, v76
	;; [unrolled: 1-line block ×11, first 2 shown]
	v_and_b32_e32 v34, 0x78, v34
	v_and_b32_e32 v36, 0xb8, v36
	v_dual_mov_b32 v6, s13 :: v_dual_and_b32 v37, 0xf8, v37
	v_and_b32_e32 v38, 0x138, v38
	v_dual_mov_b32 v4, s13 :: v_dual_add_nc_u32 v33, v33, v82
	v_dual_mov_b32 v8, s13 :: v_dual_and_b32 v39, 0x178, v39
	v_dual_mov_b32 v10, s13 :: v_dual_and_b32 v41, 0x1f8, v41
	;; [unrolled: 1-line block ×6, first 2 shown]
	v_and_b32_e32 v40, 0x1b8, v40
	v_and_b32_e32 v42, 0x238, v42
	;; [unrolled: 1-line block ×5, first 2 shown]
	v_add_nc_u32_e32 v34, v34, v82
	v_add_nc_u32_e32 v36, v36, v82
	v_dual_mov_b32 v20, s13 :: v_dual_add_nc_u32 v37, v37, v82
	v_add_nc_u32_e32 v38, v38, v82
	v_dual_mov_b32 v22, s13 :: v_dual_add_nc_u32 v39, v39, v82
	v_dual_mov_b32 v24, s13 :: v_dual_add_nc_u32 v41, v41, v82
	;; [unrolled: 1-line block ×6, first 2 shown]
	s_mov_b32 s3, s13
	v_add_nc_u32_e32 v40, v40, v82
	v_add_nc_u32_e32 v42, v42, v82
	;; [unrolled: 1-line block ×5, first 2 shown]
	s_waitcnt vmcnt(15)
	v_cmp_ne_u16_e32 vcc_lo, 0, v1
	v_cndmask_b32_e64 v1, 0, 1, vcc_lo
	s_waitcnt vmcnt(14)
	v_cmp_ne_u16_e32 vcc_lo, 0, v3
	v_cndmask_b32_e64 v3, 0, 1, vcc_lo
	;; [unrolled: 3-line block ×16, first 2 shown]
	ds_store_b64 v33, v[1:2]
	ds_store_b64 v34, v[3:4] offset:2048
	ds_store_b64 v36, v[5:6] offset:4096
	;; [unrolled: 1-line block ×15, first 2 shown]
	s_waitcnt lgkmcnt(0)
	s_barrier
.LBB22_2:
	v_cmp_gt_u32_e64 s2, s14, v0
	s_and_not1_b32 vcc_lo, exec_lo, s3
	s_cbranch_vccnz .LBB22_21
; %bb.3:
	v_mov_b32_e32 v26, 0
	s_mov_b32 s3, 0
	global_load_u8 v1, v26, s[6:7]
	v_add_co_u32 v33, s6, s6, v0
	s_delay_alu instid0(VALU_DEP_1) | instskip(SKIP_3) | instid1(VALU_DEP_1)
	v_add_co_ci_u32_e64 v34, null, s7, 0, s6
	s_waitcnt vmcnt(0)
	v_cmp_ne_u16_e32 vcc_lo, 0, v1
	v_cndmask_b32_e64 v27, 0, 1, vcc_lo
	v_dual_mov_b32 v28, s3 :: v_dual_mov_b32 v29, v27
	v_dual_mov_b32 v25, v27 :: v_dual_mov_b32 v30, v26
	;; [unrolled: 1-line block ×15, first 2 shown]
	s_and_saveexec_b32 s6, s2
	s_cbranch_execnz .LBB22_168
; %bb.4:
	s_or_b32 exec_lo, exec_lo, s6
	s_delay_alu instid0(SALU_CYCLE_1)
	s_mov_b32 s2, exec_lo
	v_cmpx_gt_u32_e64 s14, v81
	s_cbranch_execnz .LBB22_169
.LBB22_5:
	s_or_b32 exec_lo, exec_lo, s2
	s_delay_alu instid0(SALU_CYCLE_1)
	s_mov_b32 s2, exec_lo
	v_cmpx_gt_u32_e64 s14, v80
	s_cbranch_execnz .LBB22_170
.LBB22_6:
	s_or_b32 exec_lo, exec_lo, s2
	s_delay_alu instid0(SALU_CYCLE_1)
	s_mov_b32 s2, exec_lo
	v_cmpx_gt_u32_e64 s14, v79
	s_cbranch_execnz .LBB22_171
.LBB22_7:
	s_or_b32 exec_lo, exec_lo, s2
	s_delay_alu instid0(SALU_CYCLE_1)
	s_mov_b32 s2, exec_lo
	v_cmpx_gt_u32_e64 s14, v78
	s_cbranch_execnz .LBB22_172
.LBB22_8:
	s_or_b32 exec_lo, exec_lo, s2
	s_delay_alu instid0(SALU_CYCLE_1)
	s_mov_b32 s2, exec_lo
	v_cmpx_gt_u32_e64 s14, v77
	s_cbranch_execnz .LBB22_173
.LBB22_9:
	s_or_b32 exec_lo, exec_lo, s2
	s_delay_alu instid0(SALU_CYCLE_1)
	s_mov_b32 s2, exec_lo
	v_cmpx_gt_u32_e64 s14, v76
	s_cbranch_execnz .LBB22_174
.LBB22_10:
	s_or_b32 exec_lo, exec_lo, s2
	s_delay_alu instid0(SALU_CYCLE_1)
	s_mov_b32 s2, exec_lo
	v_cmpx_gt_u32_e64 s14, v75
	s_cbranch_execnz .LBB22_175
.LBB22_11:
	s_or_b32 exec_lo, exec_lo, s2
	s_delay_alu instid0(SALU_CYCLE_1)
	s_mov_b32 s2, exec_lo
	v_cmpx_gt_u32_e64 s14, v74
	s_cbranch_execnz .LBB22_176
.LBB22_12:
	s_or_b32 exec_lo, exec_lo, s2
	s_delay_alu instid0(SALU_CYCLE_1)
	s_mov_b32 s2, exec_lo
	v_cmpx_gt_u32_e64 s14, v73
	s_cbranch_execnz .LBB22_177
.LBB22_13:
	s_or_b32 exec_lo, exec_lo, s2
	s_delay_alu instid0(SALU_CYCLE_1)
	s_mov_b32 s2, exec_lo
	v_cmpx_gt_u32_e64 s14, v72
	s_cbranch_execnz .LBB22_178
.LBB22_14:
	s_or_b32 exec_lo, exec_lo, s2
	s_delay_alu instid0(SALU_CYCLE_1)
	s_mov_b32 s2, exec_lo
	v_cmpx_gt_u32_e64 s14, v71
	s_cbranch_execnz .LBB22_179
.LBB22_15:
	s_or_b32 exec_lo, exec_lo, s2
	s_delay_alu instid0(SALU_CYCLE_1)
	s_mov_b32 s2, exec_lo
	v_cmpx_gt_u32_e64 s14, v70
	s_cbranch_execnz .LBB22_180
.LBB22_16:
	s_or_b32 exec_lo, exec_lo, s2
	s_delay_alu instid0(SALU_CYCLE_1)
	s_mov_b32 s2, exec_lo
	v_cmpx_gt_u32_e64 s14, v69
	s_cbranch_execnz .LBB22_181
.LBB22_17:
	s_or_b32 exec_lo, exec_lo, s2
	s_delay_alu instid0(SALU_CYCLE_1)
	s_mov_b32 s2, exec_lo
	v_cmpx_gt_u32_e64 s14, v68
	s_cbranch_execnz .LBB22_182
.LBB22_18:
	s_or_b32 exec_lo, exec_lo, s2
	s_delay_alu instid0(SALU_CYCLE_1)
	s_mov_b32 s2, exec_lo
	v_cmpx_gt_u32_e64 s14, v67
	s_cbranch_execz .LBB22_20
.LBB22_19:
	global_load_u8 v15, v[33:34], off offset:3840
	v_mov_b32_e32 v16, 0
	s_waitcnt vmcnt(0)
	v_cmp_ne_u16_e32 vcc_lo, 0, v15
	v_cndmask_b32_e64 v15, 0, 1, vcc_lo
.LBB22_20:
	s_or_b32 exec_lo, exec_lo, s2
	v_lshrrev_b32_e32 v33, 2, v81
	v_lshrrev_b32_e32 v34, 2, v80
	;; [unrolled: 1-line block ×3, first 2 shown]
	v_and_b32_e32 v35, 56, v35
	v_lshrrev_b32_e32 v37, 2, v78
	v_and_b32_e32 v33, 0x78, v33
	v_and_b32_e32 v34, 0xf8, v34
	;; [unrolled: 1-line block ×3, first 2 shown]
	v_lshrrev_b32_e32 v38, 2, v77
	v_add_nc_u32_e32 v35, v35, v82
	v_lshrrev_b32_e32 v39, 2, v76
	v_add_nc_u32_e32 v33, v33, v82
	;; [unrolled: 2-line block ×3, first 2 shown]
	v_add_nc_u32_e32 v36, v36, v82
	v_and_b32_e32 v37, 0x1f8, v37
	v_and_b32_e32 v38, 0x1f8, v38
	ds_store_b64 v35, v[27:28]
	ds_store_b64 v33, v[25:26] offset:2048
	ds_store_b64 v34, v[29:30] offset:4096
	;; [unrolled: 1-line block ×3, first 2 shown]
	v_and_b32_e32 v27, 0x1f8, v39
	v_and_b32_e32 v28, 0x1f8, v40
	v_add_nc_u32_e32 v25, v37, v82
	v_add_nc_u32_e32 v26, v38, v82
	v_lshrrev_b32_e32 v29, 2, v74
	v_add_nc_u32_e32 v27, v27, v82
	v_lshrrev_b32_e32 v30, 2, v73
	;; [unrolled: 2-line block ×3, first 2 shown]
	ds_store_b64 v25, v[17:18] offset:8192
	ds_store_b64 v26, v[19:20] offset:10240
	;; [unrolled: 1-line block ×4, first 2 shown]
	v_lshrrev_b32_e32 v20, 2, v71
	v_lshrrev_b32_e32 v21, 2, v70
	v_and_b32_e32 v29, 0x3f8, v29
	v_lshrrev_b32_e32 v22, 2, v69
	v_lshrrev_b32_e32 v23, 2, v68
	;; [unrolled: 1-line block ×3, first 2 shown]
	v_and_b32_e32 v30, 0x3f8, v30
	v_and_b32_e32 v31, 0x3f8, v31
	;; [unrolled: 1-line block ×4, first 2 shown]
	v_add_nc_u32_e32 v17, v29, v82
	v_and_b32_e32 v22, 0x3f8, v22
	v_and_b32_e32 v23, 0x3f8, v23
	;; [unrolled: 1-line block ×3, first 2 shown]
	v_add_nc_u32_e32 v18, v30, v82
	v_add_nc_u32_e32 v19, v31, v82
	;; [unrolled: 1-line block ×7, first 2 shown]
	ds_store_b64 v17, v[1:2] offset:16384
	ds_store_b64 v18, v[3:4] offset:18432
	;; [unrolled: 1-line block ×8, first 2 shown]
	s_waitcnt lgkmcnt(0)
	s_barrier
.LBB22_21:
	v_lshlrev_b32_e32 v1, 4, v0
	v_lshrrev_b32_e32 v84, 1, v0
	buffer_gl0_inv
	s_load_b64 s[6:7], s[0:1], 0x30
	v_lshrrev_b32_e32 v83, 5, v0
	v_cmp_gt_u32_e32 vcc_lo, 32, v0
	v_add_lshl_u32 v1, v84, v1, 3
	s_cmp_lg_u32 s15, 0
	ds_load_2addr_b64 v[61:64], v1 offset1:1
	ds_load_2addr_b64 v[57:60], v1 offset0:2 offset1:3
	ds_load_2addr_b64 v[53:56], v1 offset0:4 offset1:5
	ds_load_2addr_b64 v[49:52], v1 offset0:6 offset1:7
	ds_load_2addr_b64 v[45:48], v1 offset0:8 offset1:9
	ds_load_2addr_b64 v[41:44], v1 offset0:10 offset1:11
	ds_load_2addr_b64 v[37:40], v1 offset0:12 offset1:13
	ds_load_2addr_b64 v[33:36], v1 offset0:14 offset1:15
	s_waitcnt lgkmcnt(0)
	s_barrier
	buffer_gl0_inv
	s_cbranch_scc0 .LBB22_74
; %bb.22:
	v_add_co_u32 v1, s2, v63, v61
	s_delay_alu instid0(VALU_DEP_1) | instskip(SKIP_1) | instid1(VALU_DEP_3)
	v_add_co_ci_u32_e64 v2, s2, v64, v62, s2
	v_add_lshl_u32 v3, v83, v0, 3
	v_add_co_u32 v1, s2, v1, v57
	s_delay_alu instid0(VALU_DEP_1) | instskip(NEXT) | instid1(VALU_DEP_2)
	v_add_co_ci_u32_e64 v2, s2, v2, v58, s2
	v_add_co_u32 v1, s2, v1, v59
	s_delay_alu instid0(VALU_DEP_1) | instskip(NEXT) | instid1(VALU_DEP_2)
	v_add_co_ci_u32_e64 v2, s2, v2, v60, s2
	;; [unrolled: 3-line block ×13, first 2 shown]
	v_add_co_u32 v17, s2, v1, v35
	s_delay_alu instid0(VALU_DEP_1)
	v_add_co_ci_u32_e64 v18, s2, v2, v36, s2
	ds_store_b64 v3, v[17:18]
	s_waitcnt lgkmcnt(0)
	s_barrier
	buffer_gl0_inv
	s_and_saveexec_b32 s3, vcc_lo
	s_cbranch_execz .LBB22_32
; %bb.23:
	v_lshlrev_b32_e32 v1, 1, v0
	v_mbcnt_lo_u32_b32 v24, -1, 0
	s_mov_b32 s8, exec_lo
	s_delay_alu instid0(VALU_DEP_2) | instskip(NEXT) | instid1(VALU_DEP_2)
	v_and_b32_e32 v1, 0x1f8, v1
	v_and_b32_e32 v25, 15, v24
	s_delay_alu instid0(VALU_DEP_2)
	v_lshl_or_b32 v23, v0, 6, v1
	ds_load_2addr_b64 v[1:4], v23 offset1:1
	ds_load_2addr_b64 v[5:8], v23 offset0:2 offset1:3
	ds_load_2addr_b64 v[9:12], v23 offset0:4 offset1:5
	;; [unrolled: 1-line block ×3, first 2 shown]
	s_waitcnt lgkmcnt(3)
	v_add_co_u32 v19, s2, v3, v1
	s_delay_alu instid0(VALU_DEP_1) | instskip(SKIP_1) | instid1(VALU_DEP_2)
	v_add_co_ci_u32_e64 v20, s2, v4, v2, s2
	s_waitcnt lgkmcnt(2)
	v_add_co_u32 v19, s2, v19, v5
	s_delay_alu instid0(VALU_DEP_1) | instskip(NEXT) | instid1(VALU_DEP_2)
	v_add_co_ci_u32_e64 v20, s2, v20, v6, s2
	v_add_co_u32 v19, s2, v19, v7
	s_delay_alu instid0(VALU_DEP_1) | instskip(SKIP_1) | instid1(VALU_DEP_2)
	v_add_co_ci_u32_e64 v20, s2, v20, v8, s2
	s_waitcnt lgkmcnt(1)
	v_add_co_u32 v19, s2, v19, v9
	s_delay_alu instid0(VALU_DEP_1) | instskip(NEXT) | instid1(VALU_DEP_2)
	v_add_co_ci_u32_e64 v20, s2, v20, v10, s2
	;; [unrolled: 7-line block ×3, first 2 shown]
	v_add_co_u32 v19, s2, v19, v15
	s_delay_alu instid0(VALU_DEP_1) | instskip(NEXT) | instid1(VALU_DEP_2)
	v_add_co_ci_u32_e64 v20, s2, v20, v16, s2
	v_mov_b32_dpp v27, v19 row_shr:1 row_mask:0xf bank_mask:0xf
	s_delay_alu instid0(VALU_DEP_2)
	v_mov_b32_e32 v22, v20
	v_mov_b32_dpp v26, v20 row_shr:1 row_mask:0xf bank_mask:0xf
	v_mov_b32_e32 v21, v19
	v_cmpx_ne_u32_e32 0, v25
; %bb.24:
	v_add_co_u32 v19, s2, v19, v27
	s_delay_alu instid0(VALU_DEP_1) | instskip(NEXT) | instid1(VALU_DEP_2)
	v_add_co_ci_u32_e64 v20, s2, 0, v20, s2
	v_add_co_u32 v21, s2, 0, v19
	s_delay_alu instid0(VALU_DEP_1) | instskip(NEXT) | instid1(VALU_DEP_1)
	v_add_co_ci_u32_e64 v22, s2, v26, v20, s2
	v_mov_b32_e32 v20, v22
; %bb.25:
	s_or_b32 exec_lo, exec_lo, s8
	v_mov_b32_dpp v27, v19 row_shr:2 row_mask:0xf bank_mask:0xf
	s_delay_alu instid0(VALU_DEP_2)
	v_mov_b32_dpp v26, v20 row_shr:2 row_mask:0xf bank_mask:0xf
	s_mov_b32 s8, exec_lo
	v_cmpx_lt_u32_e32 1, v25
; %bb.26:
	s_delay_alu instid0(VALU_DEP_3) | instskip(NEXT) | instid1(VALU_DEP_1)
	v_add_co_u32 v19, s2, v21, v27
	v_add_co_ci_u32_e64 v20, s2, 0, v22, s2
	s_delay_alu instid0(VALU_DEP_2) | instskip(NEXT) | instid1(VALU_DEP_1)
	v_add_co_u32 v21, s2, 0, v19
	v_add_co_ci_u32_e64 v22, s2, v26, v20, s2
	s_delay_alu instid0(VALU_DEP_1)
	v_mov_b32_e32 v20, v22
; %bb.27:
	s_or_b32 exec_lo, exec_lo, s8
	v_mov_b32_dpp v27, v19 row_shr:4 row_mask:0xf bank_mask:0xf
	s_delay_alu instid0(VALU_DEP_2)
	v_mov_b32_dpp v26, v20 row_shr:4 row_mask:0xf bank_mask:0xf
	s_mov_b32 s8, exec_lo
	v_cmpx_lt_u32_e32 3, v25
; %bb.28:
	s_delay_alu instid0(VALU_DEP_3) | instskip(NEXT) | instid1(VALU_DEP_1)
	v_add_co_u32 v19, s2, v21, v27
	v_add_co_ci_u32_e64 v20, s2, 0, v22, s2
	s_delay_alu instid0(VALU_DEP_2) | instskip(NEXT) | instid1(VALU_DEP_1)
	v_add_co_u32 v21, s2, 0, v19
	v_add_co_ci_u32_e64 v22, s2, v26, v20, s2
	s_delay_alu instid0(VALU_DEP_1)
	;; [unrolled: 16-line block ×3, first 2 shown]
	v_mov_b32_e32 v20, v22
; %bb.31:
	s_or_b32 exec_lo, exec_lo, s8
	ds_swizzle_b32 v25, v19 offset:swizzle(BROADCAST,32,15)
	ds_swizzle_b32 v26, v20 offset:swizzle(BROADCAST,32,15)
	v_add_nc_u32_e32 v27, -1, v24
	v_and_b32_e32 v28, 16, v24
	s_delay_alu instid0(VALU_DEP_2) | instskip(NEXT) | instid1(VALU_DEP_1)
	v_cmp_gt_i32_e64 s2, 0, v27
	v_cndmask_b32_e64 v24, v27, v24, s2
	s_delay_alu instid0(VALU_DEP_1) | instskip(SKIP_2) | instid1(VALU_DEP_1)
	v_lshlrev_b32_e32 v24, 2, v24
	s_waitcnt lgkmcnt(1)
	v_add_co_u32 v21, s2, v21, v25
	v_add_co_ci_u32_e64 v22, s2, 0, v22, s2
	v_cmp_eq_u32_e64 s2, 0, v28
	s_delay_alu instid0(VALU_DEP_1) | instskip(SKIP_1) | instid1(VALU_DEP_3)
	v_cndmask_b32_e64 v19, v21, v19, s2
	s_waitcnt lgkmcnt(0)
	v_add_nc_u32_e32 v21, v26, v22
	ds_bpermute_b32 v19, v24, v19
	v_cndmask_b32_e64 v20, v21, v20, s2
	ds_bpermute_b32 v20, v24, v20
	s_waitcnt lgkmcnt(1)
	v_add_co_u32 v1, s2, v1, v19
	s_delay_alu instid0(VALU_DEP_1) | instskip(NEXT) | instid1(VALU_DEP_2)
	v_add_co_ci_u32_e64 v2, s2, 0, v2, s2
	v_add_co_u32 v1, s2, v1, 0
	s_waitcnt lgkmcnt(0)
	s_delay_alu instid0(VALU_DEP_2) | instskip(SKIP_1) | instid1(VALU_DEP_1)
	v_add_co_ci_u32_e64 v2, s2, v2, v20, s2
	v_cmp_eq_u32_e64 s2, 0, v0
	v_cndmask_b32_e64 v1, v1, v17, s2
	s_delay_alu instid0(VALU_DEP_3) | instskip(NEXT) | instid1(VALU_DEP_2)
	v_cndmask_b32_e64 v2, v2, v18, s2
	v_add_co_u32 v3, s2, v1, v3
	s_delay_alu instid0(VALU_DEP_1) | instskip(NEXT) | instid1(VALU_DEP_2)
	v_add_co_ci_u32_e64 v4, s2, v2, v4, s2
	v_add_co_u32 v5, s2, v3, v5
	s_delay_alu instid0(VALU_DEP_1) | instskip(NEXT) | instid1(VALU_DEP_2)
	v_add_co_ci_u32_e64 v6, s2, v4, v6, s2
	v_add_co_u32 v7, s2, v5, v7
	s_delay_alu instid0(VALU_DEP_1) | instskip(NEXT) | instid1(VALU_DEP_2)
	v_add_co_ci_u32_e64 v8, s2, v6, v8, s2
	v_add_co_u32 v9, s2, v7, v9
	s_delay_alu instid0(VALU_DEP_1) | instskip(NEXT) | instid1(VALU_DEP_2)
	v_add_co_ci_u32_e64 v10, s2, v8, v10, s2
	v_add_co_u32 v11, s2, v9, v11
	s_delay_alu instid0(VALU_DEP_1) | instskip(NEXT) | instid1(VALU_DEP_2)
	v_add_co_ci_u32_e64 v12, s2, v10, v12, s2
	v_add_co_u32 v13, s2, v11, v13
	s_delay_alu instid0(VALU_DEP_1) | instskip(NEXT) | instid1(VALU_DEP_2)
	v_add_co_ci_u32_e64 v14, s2, v12, v14, s2
	v_add_co_u32 v15, s2, v13, v15
	s_delay_alu instid0(VALU_DEP_1)
	v_add_co_ci_u32_e64 v16, s2, v14, v16, s2
	ds_store_2addr_b64 v23, v[1:2], v[3:4] offset1:1
	ds_store_2addr_b64 v23, v[5:6], v[7:8] offset0:2 offset1:3
	ds_store_2addr_b64 v23, v[9:10], v[11:12] offset0:4 offset1:5
	;; [unrolled: 1-line block ×3, first 2 shown]
.LBB22_32:
	s_or_b32 exec_lo, exec_lo, s3
	v_mov_b32_e32 v7, 0
	v_cmp_eq_u32_e64 s2, 0, v0
	v_mov_b32_e32 v8, 0
	s_mov_b32 s8, exec_lo
	s_waitcnt lgkmcnt(0)
	s_barrier
	buffer_gl0_inv
	v_cmpx_ne_u32_e32 0, v0
	s_cbranch_execz .LBB22_34
; %bb.33:
	v_add_nc_u32_e32 v1, -1, v0
	s_delay_alu instid0(VALU_DEP_1) | instskip(NEXT) | instid1(VALU_DEP_1)
	v_lshrrev_b32_e32 v2, 5, v1
	v_add_lshl_u32 v1, v2, v1, 3
	ds_load_b64 v[7:8], v1
.LBB22_34:
	s_or_b32 exec_lo, exec_lo, s8
	s_and_saveexec_b32 s10, vcc_lo
	s_cbranch_execz .LBB22_73
; %bb.35:
	v_mov_b32_e32 v4, 0
	v_mbcnt_lo_u32_b32 v12, -1, 0
	s_mov_b32 s9, 0
	ds_load_b64 v[1:2], v4 offset:2096
	v_cmp_eq_u32_e64 s3, 0, v12
	s_delay_alu instid0(VALU_DEP_1)
	s_and_saveexec_b32 s11, s3
	s_cbranch_execz .LBB22_37
; %bb.36:
	s_add_i32 s8, s15, 32
	s_delay_alu instid0(SALU_CYCLE_1) | instskip(NEXT) | instid1(SALU_CYCLE_1)
	s_lshl_b64 s[8:9], s[8:9], 4
	s_add_u32 s8, s6, s8
	s_addc_u32 s9, s7, s9
	v_mov_b32_e32 v5, s8
	v_dual_mov_b32 v3, 1 :: v_dual_mov_b32 v6, s9
	s_waitcnt lgkmcnt(0)
	;;#ASMSTART
	global_store_dwordx4 v[5:6], v[1:4] off	
s_waitcnt vmcnt(0)
	;;#ASMEND
.LBB22_37:
	s_or_b32 exec_lo, exec_lo, s11
	v_xad_u32 v9, v12, -1, s15
	s_mov_b32 s8, exec_lo
	s_delay_alu instid0(VALU_DEP_1) | instskip(NEXT) | instid1(VALU_DEP_1)
	v_add_nc_u32_e32 v3, 32, v9
	v_lshlrev_b64 v[3:4], 4, v[3:4]
	s_delay_alu instid0(VALU_DEP_1) | instskip(NEXT) | instid1(VALU_DEP_2)
	v_add_co_u32 v10, vcc_lo, s6, v3
	v_add_co_ci_u32_e32 v11, vcc_lo, s7, v4, vcc_lo
	;;#ASMSTART
	global_load_dwordx4 v[3:6], v[10:11] off glc	
s_waitcnt vmcnt(0)
	;;#ASMEND
	v_and_b32_e32 v6, 0xff, v5
	s_delay_alu instid0(VALU_DEP_1)
	v_cmpx_eq_u16_e32 0, v6
	s_cbranch_execz .LBB22_41
; %bb.38:
	s_mov_b32 s9, 0
.LBB22_39:                              ; =>This Inner Loop Header: Depth=1
	;;#ASMSTART
	global_load_dwordx4 v[3:6], v[10:11] off glc	
s_waitcnt vmcnt(0)
	;;#ASMEND
	v_and_b32_e32 v6, 0xff, v5
	s_delay_alu instid0(VALU_DEP_1) | instskip(SKIP_1) | instid1(SALU_CYCLE_1)
	v_cmp_ne_u16_e32 vcc_lo, 0, v6
	s_or_b32 s9, vcc_lo, s9
	s_and_not1_b32 exec_lo, exec_lo, s9
	s_cbranch_execnz .LBB22_39
; %bb.40:
	s_or_b32 exec_lo, exec_lo, s9
.LBB22_41:
	s_delay_alu instid0(SALU_CYCLE_1)
	s_or_b32 exec_lo, exec_lo, s8
	v_cmp_ne_u32_e32 vcc_lo, 31, v12
	v_and_b32_e32 v10, 0xff, v5
	v_lshlrev_b32_e64 v16, v12, -1
	v_add_nc_u32_e32 v17, 1, v12
	s_mov_b32 s8, exec_lo
	v_add_co_ci_u32_e32 v6, vcc_lo, 0, v12, vcc_lo
	v_cmp_eq_u16_e32 vcc_lo, 2, v10
	s_delay_alu instid0(VALU_DEP_2) | instskip(SKIP_4) | instid1(VALU_DEP_1)
	v_dual_mov_b32 v10, v3 :: v_dual_lshlrev_b32 v15, 2, v6
	v_and_or_b32 v6, vcc_lo, v16, 0x80000000
	ds_bpermute_b32 v13, v15, v3
	ds_bpermute_b32 v11, v15, v4
	v_ctz_i32_b32_e32 v6, v6
	v_cmpx_le_u32_e64 v17, v6
	s_cbranch_execz .LBB22_43
; %bb.42:
	s_waitcnt lgkmcnt(1)
	v_add_co_u32 v10, vcc_lo, v3, v13
	v_add_co_ci_u32_e32 v4, vcc_lo, 0, v4, vcc_lo
	s_delay_alu instid0(VALU_DEP_2) | instskip(SKIP_1) | instid1(VALU_DEP_2)
	v_add_co_u32 v3, vcc_lo, 0, v10
	s_waitcnt lgkmcnt(0)
	v_add_co_ci_u32_e32 v4, vcc_lo, v11, v4, vcc_lo
.LBB22_43:
	s_or_b32 exec_lo, exec_lo, s8
	v_cmp_gt_u32_e32 vcc_lo, 30, v12
	v_add_nc_u32_e32 v19, 2, v12
	s_mov_b32 s8, exec_lo
	s_waitcnt lgkmcnt(0)
	v_cndmask_b32_e64 v11, 0, 1, vcc_lo
	s_delay_alu instid0(VALU_DEP_1) | instskip(NEXT) | instid1(VALU_DEP_1)
	v_lshlrev_b32_e32 v11, 1, v11
	v_add_lshl_u32 v18, v11, v12, 2
	ds_bpermute_b32 v13, v18, v10
	ds_bpermute_b32 v11, v18, v4
	v_cmpx_le_u32_e64 v19, v6
	s_cbranch_execz .LBB22_45
; %bb.44:
	s_waitcnt lgkmcnt(1)
	v_add_co_u32 v10, vcc_lo, v3, v13
	v_add_co_ci_u32_e32 v4, vcc_lo, 0, v4, vcc_lo
	s_delay_alu instid0(VALU_DEP_2) | instskip(SKIP_1) | instid1(VALU_DEP_2)
	v_add_co_u32 v3, vcc_lo, 0, v10
	s_waitcnt lgkmcnt(0)
	v_add_co_ci_u32_e32 v4, vcc_lo, v11, v4, vcc_lo
.LBB22_45:
	s_or_b32 exec_lo, exec_lo, s8
	v_cmp_gt_u32_e32 vcc_lo, 28, v12
	v_add_nc_u32_e32 v21, 4, v12
	s_mov_b32 s8, exec_lo
	s_waitcnt lgkmcnt(0)
	v_cndmask_b32_e64 v11, 0, 1, vcc_lo
	s_delay_alu instid0(VALU_DEP_1) | instskip(NEXT) | instid1(VALU_DEP_1)
	v_lshlrev_b32_e32 v11, 2, v11
	v_add_lshl_u32 v20, v11, v12, 2
	ds_bpermute_b32 v13, v20, v10
	ds_bpermute_b32 v11, v20, v4
	;; [unrolled: 22-line block ×4, first 2 shown]
	v_cmpx_le_u32_e64 v25, v6
	s_cbranch_execz .LBB22_51
; %bb.50:
	s_waitcnt lgkmcnt(1)
	v_add_co_u32 v3, vcc_lo, v3, v11
	v_add_co_ci_u32_e32 v4, vcc_lo, 0, v4, vcc_lo
	s_delay_alu instid0(VALU_DEP_2) | instskip(SKIP_1) | instid1(VALU_DEP_2)
	v_add_co_u32 v3, vcc_lo, v3, 0
	s_waitcnt lgkmcnt(0)
	v_add_co_ci_u32_e32 v4, vcc_lo, v4, v10, vcc_lo
.LBB22_51:
	s_or_b32 exec_lo, exec_lo, s8
	s_waitcnt lgkmcnt(0)
	v_mov_b32_e32 v10, 0
	s_branch .LBB22_53
.LBB22_52:                              ;   in Loop: Header=BB22_53 Depth=1
	s_or_b32 exec_lo, exec_lo, s8
	v_add_co_u32 v3, vcc_lo, v3, v11
	v_subrev_nc_u32_e32 v9, 32, v9
	v_add_co_ci_u32_e32 v4, vcc_lo, v4, v12, vcc_lo
.LBB22_53:                              ; =>This Loop Header: Depth=1
                                        ;     Child Loop BB22_56 Depth 2
	s_delay_alu instid0(VALU_DEP_1) | instskip(NEXT) | instid1(VALU_DEP_4)
	v_dual_mov_b32 v12, v4 :: v_dual_and_b32 v5, 0xff, v5
	v_mov_b32_e32 v11, v3
	s_delay_alu instid0(VALU_DEP_2) | instskip(SKIP_2) | instid1(VALU_DEP_1)
	v_cmp_ne_u16_e32 vcc_lo, 2, v5
	v_cndmask_b32_e64 v5, 0, 1, vcc_lo
	;;#ASMSTART
	;;#ASMEND
	v_cmp_ne_u32_e32 vcc_lo, 0, v5
	s_cmp_lg_u32 vcc_lo, exec_lo
	s_cbranch_scc1 .LBB22_68
; %bb.54:                               ;   in Loop: Header=BB22_53 Depth=1
	v_lshlrev_b64 v[3:4], 4, v[9:10]
	s_mov_b32 s8, exec_lo
	s_waitcnt lgkmcnt(0)
	s_delay_alu instid0(VALU_DEP_1) | instskip(NEXT) | instid1(VALU_DEP_2)
	v_add_co_u32 v13, vcc_lo, s6, v3
	v_add_co_ci_u32_e32 v14, vcc_lo, s7, v4, vcc_lo
	;;#ASMSTART
	global_load_dwordx4 v[3:6], v[13:14] off glc	
s_waitcnt vmcnt(0)
	;;#ASMEND
	v_and_b32_e32 v6, 0xff, v5
	s_delay_alu instid0(VALU_DEP_1)
	v_cmpx_eq_u16_e32 0, v6
	s_cbranch_execz .LBB22_58
; %bb.55:                               ;   in Loop: Header=BB22_53 Depth=1
	s_mov_b32 s9, 0
.LBB22_56:                              ;   Parent Loop BB22_53 Depth=1
                                        ; =>  This Inner Loop Header: Depth=2
	;;#ASMSTART
	global_load_dwordx4 v[3:6], v[13:14] off glc	
s_waitcnt vmcnt(0)
	;;#ASMEND
	v_and_b32_e32 v6, 0xff, v5
	s_delay_alu instid0(VALU_DEP_1) | instskip(SKIP_1) | instid1(SALU_CYCLE_1)
	v_cmp_ne_u16_e32 vcc_lo, 0, v6
	s_or_b32 s9, vcc_lo, s9
	s_and_not1_b32 exec_lo, exec_lo, s9
	s_cbranch_execnz .LBB22_56
; %bb.57:                               ;   in Loop: Header=BB22_53 Depth=1
	s_or_b32 exec_lo, exec_lo, s9
.LBB22_58:                              ;   in Loop: Header=BB22_53 Depth=1
	s_delay_alu instid0(SALU_CYCLE_1)
	s_or_b32 exec_lo, exec_lo, s8
	v_dual_mov_b32 v13, v3 :: v_dual_and_b32 v6, 0xff, v5
	ds_bpermute_b32 v26, v15, v3
	ds_bpermute_b32 v14, v15, v4
	s_mov_b32 s8, exec_lo
	v_cmp_eq_u16_e32 vcc_lo, 2, v6
	v_and_or_b32 v6, vcc_lo, v16, 0x80000000
	s_delay_alu instid0(VALU_DEP_1) | instskip(NEXT) | instid1(VALU_DEP_1)
	v_ctz_i32_b32_e32 v6, v6
	v_cmpx_le_u32_e64 v17, v6
	s_cbranch_execz .LBB22_60
; %bb.59:                               ;   in Loop: Header=BB22_53 Depth=1
	s_waitcnt lgkmcnt(1)
	v_add_co_u32 v13, vcc_lo, v3, v26
	v_add_co_ci_u32_e32 v4, vcc_lo, 0, v4, vcc_lo
	s_delay_alu instid0(VALU_DEP_2) | instskip(SKIP_1) | instid1(VALU_DEP_2)
	v_add_co_u32 v3, vcc_lo, 0, v13
	s_waitcnt lgkmcnt(0)
	v_add_co_ci_u32_e32 v4, vcc_lo, v14, v4, vcc_lo
.LBB22_60:                              ;   in Loop: Header=BB22_53 Depth=1
	s_or_b32 exec_lo, exec_lo, s8
	s_waitcnt lgkmcnt(1)
	ds_bpermute_b32 v26, v18, v13
	s_waitcnt lgkmcnt(1)
	ds_bpermute_b32 v14, v18, v4
	s_mov_b32 s8, exec_lo
	v_cmpx_le_u32_e64 v19, v6
	s_cbranch_execz .LBB22_62
; %bb.61:                               ;   in Loop: Header=BB22_53 Depth=1
	s_waitcnt lgkmcnt(1)
	v_add_co_u32 v13, vcc_lo, v3, v26
	v_add_co_ci_u32_e32 v4, vcc_lo, 0, v4, vcc_lo
	s_delay_alu instid0(VALU_DEP_2) | instskip(SKIP_1) | instid1(VALU_DEP_2)
	v_add_co_u32 v3, vcc_lo, 0, v13
	s_waitcnt lgkmcnt(0)
	v_add_co_ci_u32_e32 v4, vcc_lo, v14, v4, vcc_lo
.LBB22_62:                              ;   in Loop: Header=BB22_53 Depth=1
	s_or_b32 exec_lo, exec_lo, s8
	s_waitcnt lgkmcnt(1)
	ds_bpermute_b32 v26, v20, v13
	s_waitcnt lgkmcnt(1)
	ds_bpermute_b32 v14, v20, v4
	s_mov_b32 s8, exec_lo
	;; [unrolled: 17-line block ×3, first 2 shown]
	v_cmpx_le_u32_e64 v23, v6
	s_cbranch_execz .LBB22_66
; %bb.65:                               ;   in Loop: Header=BB22_53 Depth=1
	s_waitcnt lgkmcnt(1)
	v_add_co_u32 v13, vcc_lo, v3, v26
	v_add_co_ci_u32_e32 v4, vcc_lo, 0, v4, vcc_lo
	s_delay_alu instid0(VALU_DEP_2) | instskip(SKIP_1) | instid1(VALU_DEP_2)
	v_add_co_u32 v3, vcc_lo, 0, v13
	s_waitcnt lgkmcnt(0)
	v_add_co_ci_u32_e32 v4, vcc_lo, v14, v4, vcc_lo
.LBB22_66:                              ;   in Loop: Header=BB22_53 Depth=1
	s_or_b32 exec_lo, exec_lo, s8
	s_waitcnt lgkmcnt(0)
	ds_bpermute_b32 v14, v24, v13
	ds_bpermute_b32 v13, v24, v4
	s_mov_b32 s8, exec_lo
	v_cmpx_le_u32_e64 v25, v6
	s_cbranch_execz .LBB22_52
; %bb.67:                               ;   in Loop: Header=BB22_53 Depth=1
	s_waitcnt lgkmcnt(1)
	v_add_co_u32 v3, vcc_lo, v3, v14
	v_add_co_ci_u32_e32 v4, vcc_lo, 0, v4, vcc_lo
	s_delay_alu instid0(VALU_DEP_2) | instskip(SKIP_1) | instid1(VALU_DEP_2)
	v_add_co_u32 v3, vcc_lo, v3, 0
	s_waitcnt lgkmcnt(0)
	v_add_co_ci_u32_e32 v4, vcc_lo, v4, v13, vcc_lo
	s_branch .LBB22_52
.LBB22_68:                              ;   in Loop: Header=BB22_53 Depth=1
                                        ; implicit-def: $vgpr3_vgpr4
	s_cbranch_execz .LBB22_53
; %bb.69:
	s_and_saveexec_b32 s8, s3
	s_cbranch_execz .LBB22_71
; %bb.70:
	s_add_i32 s22, s15, 32
	s_mov_b32 s23, 0
	v_add_co_u32 v1, vcc_lo, v11, v1
	s_lshl_b64 s[22:23], s[22:23], 4
	v_add_co_ci_u32_e32 v2, vcc_lo, v12, v2, vcc_lo
	s_add_u32 s22, s6, s22
	s_addc_u32 s23, s7, s23
	v_dual_mov_b32 v3, 2 :: v_dual_mov_b32 v4, 0
	v_dual_mov_b32 v5, s22 :: v_dual_mov_b32 v6, s23
	;;#ASMSTART
	global_store_dwordx4 v[5:6], v[1:4] off	
s_waitcnt vmcnt(0)
	;;#ASMEND
.LBB22_71:
	s_or_b32 exec_lo, exec_lo, s8
	s_delay_alu instid0(SALU_CYCLE_1)
	s_and_b32 exec_lo, exec_lo, s2
	s_cbranch_execz .LBB22_73
; %bb.72:
	v_mov_b32_e32 v1, 0
	ds_store_b64 v1, v[11:12]
.LBB22_73:
	s_or_b32 exec_lo, exec_lo, s10
	v_mov_b32_e32 v1, 0
	s_waitcnt lgkmcnt(0)
	s_barrier
	buffer_gl0_inv
	ds_load_b64 v[1:2], v1
	s_waitcnt lgkmcnt(0)
	v_add_co_u32 v1, vcc_lo, v1, v7
	v_add_co_ci_u32_e32 v2, vcc_lo, v2, v8, vcc_lo
	s_delay_alu instid0(VALU_DEP_2) | instskip(NEXT) | instid1(VALU_DEP_2)
	v_add_co_u32 v3, vcc_lo, v1, v61
	v_add_co_ci_u32_e32 v4, vcc_lo, v2, v62, vcc_lo
	s_delay_alu instid0(VALU_DEP_2) | instskip(NEXT) | instid1(VALU_DEP_2)
	;; [unrolled: 3-line block ×15, first 2 shown]
	v_add_co_u32 v31, vcc_lo, v29, v33
	v_add_co_ci_u32_e32 v32, vcc_lo, v30, v34, vcc_lo
	s_load_b128 s[8:11], s[0:1], 0x40
	s_branch .LBB22_92
.LBB22_74:
                                        ; implicit-def: $vgpr1_vgpr2_vgpr3_vgpr4_vgpr5_vgpr6_vgpr7_vgpr8_vgpr9_vgpr10_vgpr11_vgpr12_vgpr13_vgpr14_vgpr15_vgpr16_vgpr17_vgpr18_vgpr19_vgpr20_vgpr21_vgpr22_vgpr23_vgpr24_vgpr25_vgpr26_vgpr27_vgpr28_vgpr29_vgpr30_vgpr31_vgpr32
	s_load_b128 s[8:11], s[0:1], 0x40
	s_cbranch_execz .LBB22_92
; %bb.75:
	s_load_b32 s2, s[0:1], 0x50
	v_dual_mov_b32 v66, s19 :: v_dual_mov_b32 v65, s18
	s_waitcnt lgkmcnt(0)
	s_bitcmp0_b32 s2, 0
	s_cbranch_scc1 .LBB22_77
; %bb.76:
	v_mov_b32_e32 v1, 0
	s_load_b64 s[2:3], s[8:9], 0x0
	global_load_u8 v1, v1, s[16:17] offset:-1
	s_waitcnt vmcnt(0)
	v_cmp_ne_u16_e32 vcc_lo, 0, v1
	v_cndmask_b32_e64 v1, 0, 1, vcc_lo
	s_waitcnt lgkmcnt(0)
	s_delay_alu instid0(VALU_DEP_1) | instskip(NEXT) | instid1(VALU_DEP_1)
	v_add_co_u32 v65, s2, s2, v1
	v_add_co_ci_u32_e64 v66, null, s3, 0, s2
.LBB22_77:
	v_add_co_u32 v1, vcc_lo, v63, v61
	v_add_co_ci_u32_e32 v2, vcc_lo, v64, v62, vcc_lo
	v_add_lshl_u32 v3, v83, v0, 3
	s_delay_alu instid0(VALU_DEP_3) | instskip(NEXT) | instid1(VALU_DEP_3)
	v_add_co_u32 v1, vcc_lo, v1, v57
	v_add_co_ci_u32_e32 v2, vcc_lo, v2, v58, vcc_lo
	s_mov_b32 s2, exec_lo
	s_delay_alu instid0(VALU_DEP_2) | instskip(NEXT) | instid1(VALU_DEP_2)
	v_add_co_u32 v1, vcc_lo, v1, v59
	v_add_co_ci_u32_e32 v2, vcc_lo, v2, v60, vcc_lo
	s_delay_alu instid0(VALU_DEP_2) | instskip(NEXT) | instid1(VALU_DEP_2)
	v_add_co_u32 v1, vcc_lo, v1, v53
	v_add_co_ci_u32_e32 v2, vcc_lo, v2, v54, vcc_lo
	;; [unrolled: 3-line block ×13, first 2 shown]
	ds_store_b64 v3, v[17:18]
	s_waitcnt lgkmcnt(0)
	s_barrier
	buffer_gl0_inv
	v_cmpx_gt_u32_e32 32, v0
	s_cbranch_execz .LBB22_87
; %bb.78:
	v_lshlrev_b32_e32 v1, 1, v0
	v_mbcnt_lo_u32_b32 v24, -1, 0
	s_mov_b32 s3, exec_lo
	s_delay_alu instid0(VALU_DEP_2) | instskip(NEXT) | instid1(VALU_DEP_2)
	v_and_b32_e32 v1, 0x1f8, v1
	v_and_b32_e32 v25, 15, v24
	s_delay_alu instid0(VALU_DEP_2)
	v_lshl_or_b32 v23, v0, 6, v1
	ds_load_2addr_b64 v[1:4], v23 offset1:1
	ds_load_2addr_b64 v[5:8], v23 offset0:2 offset1:3
	ds_load_2addr_b64 v[9:12], v23 offset0:4 offset1:5
	;; [unrolled: 1-line block ×3, first 2 shown]
	s_waitcnt lgkmcnt(3)
	v_add_co_u32 v19, vcc_lo, v3, v1
	v_add_co_ci_u32_e32 v20, vcc_lo, v4, v2, vcc_lo
	s_waitcnt lgkmcnt(2)
	s_delay_alu instid0(VALU_DEP_2) | instskip(NEXT) | instid1(VALU_DEP_2)
	v_add_co_u32 v19, vcc_lo, v19, v5
	v_add_co_ci_u32_e32 v20, vcc_lo, v20, v6, vcc_lo
	s_delay_alu instid0(VALU_DEP_2) | instskip(NEXT) | instid1(VALU_DEP_2)
	v_add_co_u32 v19, vcc_lo, v19, v7
	v_add_co_ci_u32_e32 v20, vcc_lo, v20, v8, vcc_lo
	s_waitcnt lgkmcnt(1)
	s_delay_alu instid0(VALU_DEP_2) | instskip(NEXT) | instid1(VALU_DEP_2)
	v_add_co_u32 v19, vcc_lo, v19, v9
	v_add_co_ci_u32_e32 v20, vcc_lo, v20, v10, vcc_lo
	s_delay_alu instid0(VALU_DEP_2) | instskip(NEXT) | instid1(VALU_DEP_2)
	v_add_co_u32 v19, vcc_lo, v19, v11
	v_add_co_ci_u32_e32 v20, vcc_lo, v20, v12, vcc_lo
	s_waitcnt lgkmcnt(0)
	s_delay_alu instid0(VALU_DEP_2) | instskip(NEXT) | instid1(VALU_DEP_2)
	v_add_co_u32 v19, vcc_lo, v19, v13
	v_add_co_ci_u32_e32 v20, vcc_lo, v20, v14, vcc_lo
	s_delay_alu instid0(VALU_DEP_2) | instskip(NEXT) | instid1(VALU_DEP_2)
	v_add_co_u32 v19, vcc_lo, v19, v15
	v_add_co_ci_u32_e32 v20, vcc_lo, v20, v16, vcc_lo
	s_delay_alu instid0(VALU_DEP_2) | instskip(NEXT) | instid1(VALU_DEP_2)
	v_mov_b32_dpp v27, v19 row_shr:1 row_mask:0xf bank_mask:0xf
	v_mov_b32_e32 v22, v20
	v_mov_b32_dpp v26, v20 row_shr:1 row_mask:0xf bank_mask:0xf
	v_mov_b32_e32 v21, v19
	v_cmpx_ne_u32_e32 0, v25
; %bb.79:
	v_add_co_u32 v19, vcc_lo, v19, v27
	v_add_co_ci_u32_e32 v20, vcc_lo, 0, v20, vcc_lo
	s_delay_alu instid0(VALU_DEP_2) | instskip(NEXT) | instid1(VALU_DEP_2)
	v_add_co_u32 v21, vcc_lo, 0, v19
	v_add_co_ci_u32_e32 v22, vcc_lo, v26, v20, vcc_lo
	s_delay_alu instid0(VALU_DEP_1)
	v_mov_b32_e32 v20, v22
; %bb.80:
	s_or_b32 exec_lo, exec_lo, s3
	v_mov_b32_dpp v27, v19 row_shr:2 row_mask:0xf bank_mask:0xf
	s_delay_alu instid0(VALU_DEP_2)
	v_mov_b32_dpp v26, v20 row_shr:2 row_mask:0xf bank_mask:0xf
	s_mov_b32 s3, exec_lo
	v_cmpx_lt_u32_e32 1, v25
; %bb.81:
	s_delay_alu instid0(VALU_DEP_3) | instskip(SKIP_1) | instid1(VALU_DEP_2)
	v_add_co_u32 v19, vcc_lo, v21, v27
	v_add_co_ci_u32_e32 v20, vcc_lo, 0, v22, vcc_lo
	v_add_co_u32 v21, vcc_lo, 0, v19
	s_delay_alu instid0(VALU_DEP_2) | instskip(NEXT) | instid1(VALU_DEP_1)
	v_add_co_ci_u32_e32 v22, vcc_lo, v26, v20, vcc_lo
	v_mov_b32_e32 v20, v22
; %bb.82:
	s_or_b32 exec_lo, exec_lo, s3
	v_mov_b32_dpp v27, v19 row_shr:4 row_mask:0xf bank_mask:0xf
	s_delay_alu instid0(VALU_DEP_2)
	v_mov_b32_dpp v26, v20 row_shr:4 row_mask:0xf bank_mask:0xf
	s_mov_b32 s3, exec_lo
	v_cmpx_lt_u32_e32 3, v25
; %bb.83:
	s_delay_alu instid0(VALU_DEP_3) | instskip(SKIP_1) | instid1(VALU_DEP_2)
	v_add_co_u32 v19, vcc_lo, v21, v27
	v_add_co_ci_u32_e32 v20, vcc_lo, 0, v22, vcc_lo
	v_add_co_u32 v21, vcc_lo, 0, v19
	s_delay_alu instid0(VALU_DEP_2) | instskip(NEXT) | instid1(VALU_DEP_1)
	v_add_co_ci_u32_e32 v22, vcc_lo, v26, v20, vcc_lo
	;; [unrolled: 15-line block ×3, first 2 shown]
	v_mov_b32_e32 v20, v22
; %bb.86:
	s_or_b32 exec_lo, exec_lo, s3
	ds_swizzle_b32 v25, v19 offset:swizzle(BROADCAST,32,15)
	ds_swizzle_b32 v26, v20 offset:swizzle(BROADCAST,32,15)
	v_add_nc_u32_e32 v27, -1, v24
	v_and_b32_e32 v28, 16, v24
	s_delay_alu instid0(VALU_DEP_2)
	v_cmp_gt_i32_e32 vcc_lo, 0, v27
	v_cndmask_b32_e32 v24, v27, v24, vcc_lo
	s_waitcnt lgkmcnt(1)
	v_add_co_u32 v21, vcc_lo, v21, v25
	v_add_co_ci_u32_e32 v22, vcc_lo, 0, v22, vcc_lo
	v_cmp_eq_u32_e32 vcc_lo, 0, v28
	s_delay_alu instid0(VALU_DEP_3) | instskip(SKIP_1) | instid1(VALU_DEP_3)
	v_cndmask_b32_e32 v19, v21, v19, vcc_lo
	s_waitcnt lgkmcnt(0)
	v_add_nc_u32_e32 v21, v26, v22
	v_lshlrev_b32_e32 v24, 2, v24
	s_delay_alu instid0(VALU_DEP_2)
	v_cndmask_b32_e32 v20, v21, v20, vcc_lo
	ds_bpermute_b32 v19, v24, v19
	ds_bpermute_b32 v20, v24, v20
	s_waitcnt lgkmcnt(1)
	v_add_co_u32 v1, vcc_lo, v1, v19
	v_add_co_ci_u32_e32 v2, vcc_lo, 0, v2, vcc_lo
	s_delay_alu instid0(VALU_DEP_2) | instskip(SKIP_1) | instid1(VALU_DEP_2)
	v_add_co_u32 v1, vcc_lo, v1, 0
	s_waitcnt lgkmcnt(0)
	v_add_co_ci_u32_e32 v2, vcc_lo, v2, v20, vcc_lo
	v_cmp_eq_u32_e32 vcc_lo, 0, v0
	s_delay_alu instid0(VALU_DEP_2) | instskip(NEXT) | instid1(VALU_DEP_1)
	v_dual_cndmask_b32 v1, v1, v17 :: v_dual_cndmask_b32 v2, v2, v18
	v_add_co_u32 v3, vcc_lo, v1, v3
	s_delay_alu instid0(VALU_DEP_2) | instskip(NEXT) | instid1(VALU_DEP_2)
	v_add_co_ci_u32_e32 v4, vcc_lo, v2, v4, vcc_lo
	v_add_co_u32 v5, vcc_lo, v3, v5
	s_delay_alu instid0(VALU_DEP_2) | instskip(NEXT) | instid1(VALU_DEP_2)
	v_add_co_ci_u32_e32 v6, vcc_lo, v4, v6, vcc_lo
	;; [unrolled: 3-line block ×6, first 2 shown]
	v_add_co_u32 v15, vcc_lo, v13, v15
	s_delay_alu instid0(VALU_DEP_2)
	v_add_co_ci_u32_e32 v16, vcc_lo, v14, v16, vcc_lo
	ds_store_2addr_b64 v23, v[1:2], v[3:4] offset1:1
	ds_store_2addr_b64 v23, v[5:6], v[7:8] offset0:2 offset1:3
	ds_store_2addr_b64 v23, v[9:10], v[11:12] offset0:4 offset1:5
	;; [unrolled: 1-line block ×3, first 2 shown]
.LBB22_87:
	s_or_b32 exec_lo, exec_lo, s2
	v_cmp_eq_u32_e32 vcc_lo, 0, v0
	v_dual_mov_b32 v1, v65 :: v_dual_mov_b32 v2, v66
	s_mov_b32 s3, exec_lo
	s_waitcnt lgkmcnt(0)
	s_barrier
	buffer_gl0_inv
	v_cmpx_ne_u32_e32 0, v0
	s_cbranch_execz .LBB22_89
; %bb.88:
	v_add_nc_u32_e32 v1, -1, v0
	s_delay_alu instid0(VALU_DEP_1) | instskip(NEXT) | instid1(VALU_DEP_1)
	v_lshrrev_b32_e32 v2, 5, v1
	v_add_lshl_u32 v1, v2, v1, 3
	ds_load_b64 v[1:2], v1
	s_waitcnt lgkmcnt(0)
	v_add_co_u32 v1, s2, v1, v65
	s_delay_alu instid0(VALU_DEP_1)
	v_add_co_ci_u32_e64 v2, s2, v2, v66, s2
.LBB22_89:
	s_or_b32 exec_lo, exec_lo, s3
	s_delay_alu instid0(VALU_DEP_2) | instskip(NEXT) | instid1(VALU_DEP_1)
	v_add_co_u32 v3, s2, v1, v61
	v_add_co_ci_u32_e64 v4, s2, v2, v62, s2
	s_delay_alu instid0(VALU_DEP_2) | instskip(NEXT) | instid1(VALU_DEP_1)
	v_add_co_u32 v5, s2, v3, v63
	v_add_co_ci_u32_e64 v6, s2, v4, v64, s2
	;; [unrolled: 3-line block ×15, first 2 shown]
	s_and_saveexec_b32 s2, vcc_lo
	s_cbranch_execz .LBB22_91
; %bb.90:
	v_dual_mov_b32 v36, 0 :: v_dual_mov_b32 v35, 2
	s_add_u32 s6, s6, 0x200
	s_addc_u32 s7, s7, 0
	s_delay_alu instid0(SALU_CYCLE_1)
	v_dual_mov_b32 v38, s7 :: v_dual_mov_b32 v37, s6
	ds_load_b64 v[33:34], v36 offset:2096
	s_waitcnt lgkmcnt(0)
	v_add_co_u32 v33, vcc_lo, v33, v65
	v_add_co_ci_u32_e32 v34, vcc_lo, v34, v66, vcc_lo
	;;#ASMSTART
	global_store_dwordx4 v[37:38], v[33:36] off	
s_waitcnt vmcnt(0)
	;;#ASMEND
.LBB22_91:
	s_or_b32 exec_lo, exec_lo, s2
.LBB22_92:
	s_lshl_b64 s[2:3], s[12:13], 3
	v_lshlrev_b32_e32 v33, 7, v0
	s_add_u32 s2, s4, s2
	s_addc_u32 s3, s5, s3
	s_and_b32 vcc_lo, exec_lo, s21
	s_mov_b32 s4, -1
	s_waitcnt lgkmcnt(0)
	s_barrier
	buffer_gl0_inv
	s_cbranch_vccz .LBB22_94
; %bb.93:
	v_lshl_add_u32 v34, v84, 3, v33
	v_lshrrev_b32_e32 v35, 5, v80
	v_lshrrev_b32_e32 v36, 5, v79
	v_add_lshl_u32 v37, v83, v0, 3
	v_lshrrev_b32_e32 v42, 5, v78
	ds_store_2addr_b64 v34, v[1:2], v[3:4] offset1:1
	ds_store_2addr_b64 v34, v[5:6], v[7:8] offset0:2 offset1:3
	ds_store_2addr_b64 v34, v[9:10], v[11:12] offset0:4 offset1:5
	ds_store_2addr_b64 v34, v[13:14], v[15:16] offset0:6 offset1:7
	ds_store_2addr_b64 v34, v[17:18], v[19:20] offset0:8 offset1:9
	ds_store_2addr_b64 v34, v[21:22], v[23:24] offset0:10 offset1:11
	ds_store_2addr_b64 v34, v[25:26], v[27:28] offset0:12 offset1:13
	ds_store_2addr_b64 v34, v[29:30], v[31:32] offset0:14 offset1:15
	v_lshrrev_b32_e32 v34, 5, v81
	v_add_lshl_u32 v39, v35, v0, 3
	v_add_lshl_u32 v40, v36, v0, 3
	s_waitcnt lgkmcnt(0)
	s_barrier
	v_add_lshl_u32 v38, v34, v0, 3
	buffer_gl0_inv
	v_lshrrev_b32_e32 v51, 5, v73
	ds_load_b64 v[34:35], v37
	ds_load_b64 v[36:37], v38 offset:2048
	ds_load_b64 v[38:39], v39 offset:4096
	;; [unrolled: 1-line block ×3, first 2 shown]
	v_lshrrev_b32_e32 v43, 5, v77
	v_lshrrev_b32_e32 v52, 5, v72
	;; [unrolled: 1-line block ×5, first 2 shown]
	v_add_lshl_u32 v42, v42, v0, 3
	v_add_lshl_u32 v53, v51, v0, 3
	v_lshrrev_b32_e32 v51, 5, v71
	v_add_lshl_u32 v46, v43, v0, 3
	v_add_lshl_u32 v54, v52, v0, 3
	v_lshrrev_b32_e32 v52, 5, v70
	v_lshrrev_b32_e32 v55, 5, v69
	;; [unrolled: 1-line block ×4, first 2 shown]
	v_add_lshl_u32 v47, v44, v0, 3
	v_add_lshl_u32 v50, v50, v0, 3
	v_add_co_u32 v66, s5, s2, v82
	v_add_lshl_u32 v48, v45, v0, 3
	v_add_co_ci_u32_e64 v95, null, s3, 0, s5
	ds_load_b64 v[42:43], v42 offset:8192
	ds_load_b64 v[44:45], v46 offset:10240
	ds_load_b64 v[46:47], v47 offset:12288
	ds_load_b64 v[48:49], v48 offset:14336
	v_add_lshl_u32 v58, v51, v0, 3
	v_add_lshl_u32 v59, v52, v0, 3
	;; [unrolled: 1-line block ×5, first 2 shown]
	ds_load_b64 v[50:51], v50 offset:16384
	ds_load_b64 v[52:53], v53 offset:18432
	;; [unrolled: 1-line block ×8, first 2 shown]
	s_waitcnt lgkmcnt(14)
	global_store_b64 v82, v[36:37], s[2:3] offset:2048
	v_add_co_u32 v36, vcc_lo, 0x1000, v66
	v_add_co_ci_u32_e32 v37, vcc_lo, 0, v95, vcc_lo
	v_add_co_u32 v85, vcc_lo, v66, 0x2000
	v_add_co_ci_u32_e32 v86, vcc_lo, 0, v95, vcc_lo
	;; [unrolled: 2-line block ×6, first 2 shown]
	s_waitcnt lgkmcnt(13)
	global_store_b64 v[85:86], v[38:39], off offset:-4096
	s_waitcnt lgkmcnt(11)
	global_store_b64 v[85:86], v[42:43], off
	s_waitcnt lgkmcnt(9)
	global_store_b64 v[91:92], v[46:47], off offset:-4096
	s_waitcnt lgkmcnt(7)
	s_clause 0x3
	global_store_b64 v[91:92], v[50:51], off
	global_store_b64 v[36:37], v[40:41], off offset:2048
	global_store_b64 v[87:88], v[44:45], off offset:2048
	;; [unrolled: 1-line block ×3, first 2 shown]
	s_waitcnt lgkmcnt(6)
	global_store_b64 v[93:94], v[52:53], off offset:2048
	v_add_co_u32 v36, vcc_lo, v66, 0x6000
	v_add_co_ci_u32_e32 v37, vcc_lo, 0, v95, vcc_lo
	v_add_co_u32 v38, vcc_lo, 0x5000, v66
	v_add_co_ci_u32_e32 v39, vcc_lo, 0, v95, vcc_lo
	;; [unrolled: 2-line block ×4, first 2 shown]
	s_mov_b32 s4, 0
	s_waitcnt lgkmcnt(5)
	s_clause 0x1
	global_store_b64 v[36:37], v[54:55], off offset:-4096
	global_store_b64 v82, v[34:35], s[2:3]
	s_waitcnt lgkmcnt(3)
	s_clause 0x1
	global_store_b64 v[36:37], v[58:59], off
	global_store_b64 v[38:39], v[56:57], off offset:2048
	s_waitcnt lgkmcnt(2)
	global_store_b64 v[40:41], v[60:61], off offset:2048
	s_waitcnt lgkmcnt(1)
	global_store_b64 v[42:43], v[62:63], off
	s_waitcnt lgkmcnt(0)
	global_store_b64 v[42:43], v[64:65], off offset:2048
.LBB22_94:
	s_and_not1_b32 vcc_lo, exec_lo, s4
	s_cbranch_vccnz .LBB22_167
; %bb.95:
	v_lshl_add_u32 v33, v84, 3, v33
	v_add_co_u32 v34, s2, s2, v82
	s_delay_alu instid0(VALU_DEP_1)
	v_add_co_ci_u32_e64 v35, null, s3, 0, s2
	ds_store_2addr_b64 v33, v[1:2], v[3:4] offset1:1
	ds_store_2addr_b64 v33, v[5:6], v[7:8] offset0:2 offset1:3
	ds_store_2addr_b64 v33, v[9:10], v[11:12] offset0:4 offset1:5
	ds_store_2addr_b64 v33, v[13:14], v[15:16] offset0:6 offset1:7
	ds_store_2addr_b64 v33, v[17:18], v[19:20] offset0:8 offset1:9
	ds_store_2addr_b64 v33, v[21:22], v[23:24] offset0:10 offset1:11
	ds_store_2addr_b64 v33, v[25:26], v[27:28] offset0:12 offset1:13
	ds_store_2addr_b64 v33, v[29:30], v[31:32] offset0:14 offset1:15
	v_lshrrev_b32_e32 v1, 5, v81
	v_lshrrev_b32_e32 v2, 5, v80
	;; [unrolled: 1-line block ×3, first 2 shown]
	v_add_lshl_u32 v4, v83, v0, 3
	v_lshrrev_b32_e32 v10, 5, v78
	v_add_lshl_u32 v1, v1, v0, 3
	v_lshrrev_b32_e32 v11, 5, v77
	;; [unrolled: 2-line block ×4, first 2 shown]
	s_waitcnt lgkmcnt(0)
	s_waitcnt_vscnt null, 0x0
	s_barrier
	buffer_gl0_inv
	ds_load_b64 v[4:5], v4
	ds_load_b64 v[2:3], v1 offset:2048
	ds_load_b64 v[6:7], v6 offset:4096
	;; [unrolled: 1-line block ×3, first 2 shown]
	v_add_lshl_u32 v1, v10, v0, 3
	v_lshrrev_b32_e32 v18, 5, v74
	v_add_lshl_u32 v14, v11, v0, 3
	v_lshrrev_b32_e32 v19, 5, v73
	v_lshrrev_b32_e32 v20, 5, v72
	v_add_lshl_u32 v15, v12, v0, 3
	v_add_lshl_u32 v16, v13, v0, 3
	ds_load_b64 v[10:11], v1 offset:8192
	ds_load_b64 v[12:13], v14 offset:10240
	;; [unrolled: 1-line block ×4, first 2 shown]
	v_add_lshl_u32 v1, v18, v0, 3
	v_lshrrev_b32_e32 v18, 5, v71
	v_add_lshl_u32 v21, v19, v0, 3
	v_add_lshl_u32 v22, v20, v0, 3
	v_lshrrev_b32_e32 v19, 5, v70
	v_lshrrev_b32_e32 v20, 5, v69
	;; [unrolled: 1-line block ×4, first 2 shown]
	v_add_lshl_u32 v25, v18, v0, 3
	v_add_lshl_u32 v26, v19, v0, 3
	;; [unrolled: 1-line block ×5, first 2 shown]
	ds_load_b64 v[18:19], v1 offset:16384
	ds_load_b64 v[20:21], v21 offset:18432
	;; [unrolled: 1-line block ×8, first 2 shown]
	v_mov_b32_e32 v1, 0
	s_mov_b32 s2, exec_lo
	v_cmpx_gt_u32_e64 s14, v0
	s_cbranch_execnz .LBB22_183
; %bb.96:
	s_or_b32 exec_lo, exec_lo, s2
	s_delay_alu instid0(SALU_CYCLE_1)
	s_mov_b32 s2, exec_lo
	v_cmpx_gt_u32_e64 s14, v81
	s_cbranch_execnz .LBB22_184
.LBB22_97:
	s_or_b32 exec_lo, exec_lo, s2
	s_delay_alu instid0(SALU_CYCLE_1)
	s_mov_b32 s2, exec_lo
	v_cmpx_gt_u32_e64 s14, v80
	s_cbranch_execnz .LBB22_185
.LBB22_98:
	s_or_b32 exec_lo, exec_lo, s2
	s_delay_alu instid0(SALU_CYCLE_1)
	s_mov_b32 s2, exec_lo
	v_cmpx_gt_u32_e64 s14, v79
	s_cbranch_execnz .LBB22_186
.LBB22_99:
	s_or_b32 exec_lo, exec_lo, s2
	s_delay_alu instid0(SALU_CYCLE_1)
	s_mov_b32 s2, exec_lo
	v_cmpx_gt_u32_e64 s14, v78
	s_cbranch_execnz .LBB22_187
.LBB22_100:
	s_or_b32 exec_lo, exec_lo, s2
	s_delay_alu instid0(SALU_CYCLE_1)
	s_mov_b32 s2, exec_lo
	v_cmpx_gt_u32_e64 s14, v77
	s_cbranch_execnz .LBB22_188
.LBB22_101:
	s_or_b32 exec_lo, exec_lo, s2
	s_delay_alu instid0(SALU_CYCLE_1)
	s_mov_b32 s2, exec_lo
	v_cmpx_gt_u32_e64 s14, v76
	s_cbranch_execnz .LBB22_189
.LBB22_102:
	s_or_b32 exec_lo, exec_lo, s2
	s_delay_alu instid0(SALU_CYCLE_1)
	s_mov_b32 s2, exec_lo
	v_cmpx_gt_u32_e64 s14, v75
	s_cbranch_execnz .LBB22_190
.LBB22_103:
	s_or_b32 exec_lo, exec_lo, s2
	s_delay_alu instid0(SALU_CYCLE_1)
	s_mov_b32 s2, exec_lo
	v_cmpx_gt_u32_e64 s14, v74
	s_cbranch_execnz .LBB22_191
.LBB22_104:
	s_or_b32 exec_lo, exec_lo, s2
	s_delay_alu instid0(SALU_CYCLE_1)
	s_mov_b32 s2, exec_lo
	v_cmpx_gt_u32_e64 s14, v73
	s_cbranch_execnz .LBB22_192
.LBB22_105:
	s_or_b32 exec_lo, exec_lo, s2
	s_delay_alu instid0(SALU_CYCLE_1)
	s_mov_b32 s2, exec_lo
	v_cmpx_gt_u32_e64 s14, v72
	s_cbranch_execnz .LBB22_193
.LBB22_106:
	s_or_b32 exec_lo, exec_lo, s2
	s_delay_alu instid0(SALU_CYCLE_1)
	s_mov_b32 s2, exec_lo
	v_cmpx_gt_u32_e64 s14, v71
	s_cbranch_execnz .LBB22_194
.LBB22_107:
	s_or_b32 exec_lo, exec_lo, s2
	s_delay_alu instid0(SALU_CYCLE_1)
	s_mov_b32 s2, exec_lo
	v_cmpx_gt_u32_e64 s14, v70
	s_cbranch_execnz .LBB22_195
.LBB22_108:
	s_or_b32 exec_lo, exec_lo, s2
	s_delay_alu instid0(SALU_CYCLE_1)
	s_mov_b32 s2, exec_lo
	v_cmpx_gt_u32_e64 s14, v69
	s_cbranch_execnz .LBB22_196
.LBB22_109:
	s_or_b32 exec_lo, exec_lo, s2
	s_delay_alu instid0(SALU_CYCLE_1)
	s_mov_b32 s2, exec_lo
	v_cmpx_gt_u32_e64 s14, v68
	s_cbranch_execnz .LBB22_197
.LBB22_110:
	s_or_b32 exec_lo, exec_lo, s2
	s_delay_alu instid0(SALU_CYCLE_1)
	s_mov_b32 s2, exec_lo
	v_cmpx_gt_u32_e64 s14, v67
	s_cbranch_execz .LBB22_112
.LBB22_111:
	v_add_co_u32 v34, vcc_lo, 0x7000, v34
	v_add_co_ci_u32_e32 v35, vcc_lo, 0, v35, vcc_lo
	s_waitcnt lgkmcnt(0)
	global_store_b64 v[34:35], v[32:33], off offset:2048
.LBB22_112:
	s_or_b32 exec_lo, exec_lo, s2
	s_load_b32 s0, s[0:1], 0x50
	s_waitcnt lgkmcnt(0)
	s_bfe_u32 s0, s0, 0x10008
	s_delay_alu instid0(SALU_CYCLE_1)
	s_cmp_eq_u32 s0, 0
	s_cbranch_scc1 .LBB22_167
; %bb.113:
	s_add_u32 s0, s14, -1
	s_addc_u32 s1, s20, -1
	s_delay_alu instid0(SALU_CYCLE_1)
	s_lshr_b64 s[2:3], s[0:1], 4
	s_mov_b32 s1, exec_lo
	v_cmpx_eq_u64_e64 s[2:3], v[0:1]
	s_cbranch_execz .LBB22_167
; %bb.114:
	s_and_b32 s0, s0, 15
	s_mov_b32 s1, 0
	s_delay_alu instid0(SALU_CYCLE_1) | instskip(NEXT) | instid1(VALU_DEP_1)
	v_cmp_lt_i64_e64 s2, s[0:1], 8
	s_and_b32 vcc_lo, exec_lo, s2
	s_mov_b32 s2, -1
	s_cbranch_vccnz .LBB22_141
; %bb.115:
	v_cmp_lt_i64_e64 s2, s[0:1], 12
	s_delay_alu instid0(VALU_DEP_1)
	s_and_b32 vcc_lo, exec_lo, s2
	s_mov_b32 s2, -1
	s_cbranch_vccnz .LBB22_128
; %bb.116:
	v_cmp_lt_i64_e64 s2, s[0:1], 14
	s_delay_alu instid0(VALU_DEP_1)
	s_and_b32 vcc_lo, exec_lo, s2
	s_mov_b32 s2, -1
	s_cbranch_vccnz .LBB22_122
; %bb.117:
	v_cmp_gt_i64_e64 s2, s[0:1], 14
	s_delay_alu instid0(VALU_DEP_1)
	s_and_b32 vcc_lo, exec_lo, s2
	s_mov_b32 s2, -1
	s_cbranch_vccz .LBB22_119
; %bb.118:
	v_mov_b32_e32 v0, 0
	s_mov_b32 s2, 0
	global_store_b64 v0, v[32:33], s[10:11]
.LBB22_119:
	s_and_not1_b32 vcc_lo, exec_lo, s2
	s_cbranch_vccnz .LBB22_121
; %bb.120:
	v_mov_b32_e32 v0, 0
	global_store_b64 v0, v[30:31], s[10:11]
.LBB22_121:
	s_mov_b32 s2, 0
.LBB22_122:
	s_delay_alu instid0(SALU_CYCLE_1)
	s_and_not1_b32 vcc_lo, exec_lo, s2
	s_cbranch_vccnz .LBB22_127
; %bb.123:
	v_cmp_gt_i64_e64 s2, s[0:1], 12
	s_delay_alu instid0(VALU_DEP_1)
	s_and_b32 vcc_lo, exec_lo, s2
	s_mov_b32 s2, -1
	s_cbranch_vccz .LBB22_125
; %bb.124:
	v_mov_b32_e32 v0, 0
	s_mov_b32 s2, 0
	global_store_b64 v0, v[28:29], s[10:11]
.LBB22_125:
	s_and_not1_b32 vcc_lo, exec_lo, s2
	s_cbranch_vccnz .LBB22_127
; %bb.126:
	v_mov_b32_e32 v0, 0
	global_store_b64 v0, v[26:27], s[10:11]
.LBB22_127:
	s_mov_b32 s2, 0
.LBB22_128:
	s_delay_alu instid0(SALU_CYCLE_1)
	s_and_not1_b32 vcc_lo, exec_lo, s2
	s_cbranch_vccnz .LBB22_140
; %bb.129:
	v_cmp_lt_i64_e64 s2, s[0:1], 10
	s_delay_alu instid0(VALU_DEP_1)
	s_and_b32 vcc_lo, exec_lo, s2
	s_mov_b32 s2, -1
	s_cbranch_vccnz .LBB22_135
; %bb.130:
	v_cmp_gt_i64_e64 s2, s[0:1], 10
	s_delay_alu instid0(VALU_DEP_1)
	s_and_b32 vcc_lo, exec_lo, s2
	s_mov_b32 s2, -1
	s_cbranch_vccz .LBB22_132
; %bb.131:
	v_mov_b32_e32 v0, 0
	s_mov_b32 s2, 0
	global_store_b64 v0, v[24:25], s[10:11]
.LBB22_132:
	s_and_not1_b32 vcc_lo, exec_lo, s2
	s_cbranch_vccnz .LBB22_134
; %bb.133:
	v_mov_b32_e32 v0, 0
	global_store_b64 v0, v[22:23], s[10:11]
.LBB22_134:
	s_mov_b32 s2, 0
.LBB22_135:
	s_delay_alu instid0(SALU_CYCLE_1)
	s_and_not1_b32 vcc_lo, exec_lo, s2
	s_cbranch_vccnz .LBB22_140
; %bb.136:
	v_cmp_gt_i64_e64 s2, s[0:1], 8
	s_delay_alu instid0(VALU_DEP_1)
	s_and_b32 vcc_lo, exec_lo, s2
	s_mov_b32 s2, -1
	s_cbranch_vccz .LBB22_138
; %bb.137:
	v_mov_b32_e32 v0, 0
	s_mov_b32 s2, 0
	global_store_b64 v0, v[20:21], s[10:11]
.LBB22_138:
	s_and_not1_b32 vcc_lo, exec_lo, s2
	s_cbranch_vccnz .LBB22_140
; %bb.139:
	v_mov_b32_e32 v0, 0
	global_store_b64 v0, v[18:19], s[10:11]
.LBB22_140:
	s_mov_b32 s2, 0
.LBB22_141:
	s_delay_alu instid0(SALU_CYCLE_1)
	s_and_not1_b32 vcc_lo, exec_lo, s2
	s_cbranch_vccnz .LBB22_167
; %bb.142:
	v_cmp_lt_i64_e64 s2, s[0:1], 4
	s_delay_alu instid0(VALU_DEP_1)
	s_and_b32 vcc_lo, exec_lo, s2
	s_mov_b32 s2, -1
	s_cbranch_vccnz .LBB22_155
; %bb.143:
	v_cmp_lt_i64_e64 s2, s[0:1], 6
	s_delay_alu instid0(VALU_DEP_1)
	s_and_b32 vcc_lo, exec_lo, s2
	s_mov_b32 s2, -1
	s_cbranch_vccnz .LBB22_149
; %bb.144:
	v_cmp_gt_i64_e64 s2, s[0:1], 6
	s_delay_alu instid0(VALU_DEP_1)
	s_and_b32 vcc_lo, exec_lo, s2
	s_mov_b32 s2, -1
	s_cbranch_vccz .LBB22_146
; %bb.145:
	v_mov_b32_e32 v0, 0
	s_mov_b32 s2, 0
	global_store_b64 v0, v[16:17], s[10:11]
.LBB22_146:
	s_and_not1_b32 vcc_lo, exec_lo, s2
	s_cbranch_vccnz .LBB22_148
; %bb.147:
	v_mov_b32_e32 v0, 0
	global_store_b64 v0, v[14:15], s[10:11]
.LBB22_148:
	s_mov_b32 s2, 0
.LBB22_149:
	s_delay_alu instid0(SALU_CYCLE_1)
	s_and_not1_b32 vcc_lo, exec_lo, s2
	s_cbranch_vccnz .LBB22_154
; %bb.150:
	v_cmp_gt_i64_e64 s2, s[0:1], 4
	s_delay_alu instid0(VALU_DEP_1)
	s_and_b32 vcc_lo, exec_lo, s2
	s_mov_b32 s2, -1
	s_cbranch_vccz .LBB22_152
; %bb.151:
	v_mov_b32_e32 v0, 0
	s_mov_b32 s2, 0
	global_store_b64 v0, v[12:13], s[10:11]
.LBB22_152:
	s_and_not1_b32 vcc_lo, exec_lo, s2
	s_cbranch_vccnz .LBB22_154
; %bb.153:
	v_mov_b32_e32 v0, 0
	global_store_b64 v0, v[10:11], s[10:11]
.LBB22_154:
	s_mov_b32 s2, 0
.LBB22_155:
	s_delay_alu instid0(SALU_CYCLE_1)
	s_and_not1_b32 vcc_lo, exec_lo, s2
	s_cbranch_vccnz .LBB22_167
; %bb.156:
	v_cmp_lt_i64_e64 s2, s[0:1], 2
	s_delay_alu instid0(VALU_DEP_1)
	s_and_b32 vcc_lo, exec_lo, s2
	s_mov_b32 s2, -1
	s_cbranch_vccnz .LBB22_162
; %bb.157:
	v_cmp_gt_i64_e64 s2, s[0:1], 2
	s_delay_alu instid0(VALU_DEP_1)
	s_and_b32 vcc_lo, exec_lo, s2
	s_mov_b32 s2, -1
	s_cbranch_vccz .LBB22_159
; %bb.158:
	v_mov_b32_e32 v0, 0
	s_mov_b32 s2, 0
	global_store_b64 v0, v[8:9], s[10:11]
.LBB22_159:
	s_and_not1_b32 vcc_lo, exec_lo, s2
	s_cbranch_vccnz .LBB22_161
; %bb.160:
	v_mov_b32_e32 v0, 0
	global_store_b64 v0, v[6:7], s[10:11]
.LBB22_161:
	s_mov_b32 s2, 0
.LBB22_162:
	s_delay_alu instid0(SALU_CYCLE_1)
	s_and_not1_b32 vcc_lo, exec_lo, s2
	s_cbranch_vccnz .LBB22_167
; %bb.163:
	s_cmp_eq_u64 s[0:1], 1
	s_mov_b32 s0, -1
	s_cbranch_scc1 .LBB22_165
; %bb.164:
	v_mov_b32_e32 v0, 0
	s_mov_b32 s0, 0
	global_store_b64 v0, v[4:5], s[10:11]
.LBB22_165:
	s_and_not1_b32 vcc_lo, exec_lo, s0
	s_cbranch_vccnz .LBB22_167
; %bb.166:
	v_mov_b32_e32 v0, 0
	global_store_b64 v0, v[2:3], s[10:11]
.LBB22_167:
	s_nop 0
	s_sendmsg sendmsg(MSG_DEALLOC_VGPRS)
	s_endpgm
.LBB22_168:
	global_load_u8 v27, v[33:34], off
	v_mov_b32_e32 v28, s3
	s_waitcnt vmcnt(0)
	v_cmp_ne_u16_e32 vcc_lo, 0, v27
	v_cndmask_b32_e64 v27, 0, 1, vcc_lo
	s_or_b32 exec_lo, exec_lo, s6
	s_delay_alu instid0(SALU_CYCLE_1)
	s_mov_b32 s2, exec_lo
	v_cmpx_gt_u32_e64 s14, v81
	s_cbranch_execz .LBB22_5
.LBB22_169:
	global_load_u8 v25, v[33:34], off offset:256
	v_mov_b32_e32 v26, 0
	s_waitcnt vmcnt(0)
	v_cmp_ne_u16_e32 vcc_lo, 0, v25
	v_cndmask_b32_e64 v25, 0, 1, vcc_lo
	s_or_b32 exec_lo, exec_lo, s2
	s_delay_alu instid0(SALU_CYCLE_1)
	s_mov_b32 s2, exec_lo
	v_cmpx_gt_u32_e64 s14, v80
	s_cbranch_execz .LBB22_6
.LBB22_170:
	global_load_u8 v29, v[33:34], off offset:512
	v_mov_b32_e32 v30, 0
	s_waitcnt vmcnt(0)
	v_cmp_ne_u16_e32 vcc_lo, 0, v29
	v_cndmask_b32_e64 v29, 0, 1, vcc_lo
	s_or_b32 exec_lo, exec_lo, s2
	s_delay_alu instid0(SALU_CYCLE_1)
	s_mov_b32 s2, exec_lo
	v_cmpx_gt_u32_e64 s14, v79
	s_cbranch_execz .LBB22_7
.LBB22_171:
	global_load_u8 v31, v[33:34], off offset:768
	v_mov_b32_e32 v32, 0
	s_waitcnt vmcnt(0)
	v_cmp_ne_u16_e32 vcc_lo, 0, v31
	v_cndmask_b32_e64 v31, 0, 1, vcc_lo
	s_or_b32 exec_lo, exec_lo, s2
	s_delay_alu instid0(SALU_CYCLE_1)
	s_mov_b32 s2, exec_lo
	v_cmpx_gt_u32_e64 s14, v78
	s_cbranch_execz .LBB22_8
.LBB22_172:
	global_load_u8 v17, v[33:34], off offset:1024
	v_mov_b32_e32 v18, 0
	s_waitcnt vmcnt(0)
	v_cmp_ne_u16_e32 vcc_lo, 0, v17
	v_cndmask_b32_e64 v17, 0, 1, vcc_lo
	s_or_b32 exec_lo, exec_lo, s2
	s_delay_alu instid0(SALU_CYCLE_1)
	s_mov_b32 s2, exec_lo
	v_cmpx_gt_u32_e64 s14, v77
	s_cbranch_execz .LBB22_9
.LBB22_173:
	global_load_u8 v19, v[33:34], off offset:1280
	v_mov_b32_e32 v20, 0
	s_waitcnt vmcnt(0)
	v_cmp_ne_u16_e32 vcc_lo, 0, v19
	v_cndmask_b32_e64 v19, 0, 1, vcc_lo
	s_or_b32 exec_lo, exec_lo, s2
	s_delay_alu instid0(SALU_CYCLE_1)
	s_mov_b32 s2, exec_lo
	v_cmpx_gt_u32_e64 s14, v76
	s_cbranch_execz .LBB22_10
.LBB22_174:
	global_load_u8 v21, v[33:34], off offset:1536
	v_mov_b32_e32 v22, 0
	s_waitcnt vmcnt(0)
	v_cmp_ne_u16_e32 vcc_lo, 0, v21
	v_cndmask_b32_e64 v21, 0, 1, vcc_lo
	s_or_b32 exec_lo, exec_lo, s2
	s_delay_alu instid0(SALU_CYCLE_1)
	s_mov_b32 s2, exec_lo
	v_cmpx_gt_u32_e64 s14, v75
	s_cbranch_execz .LBB22_11
.LBB22_175:
	global_load_u8 v23, v[33:34], off offset:1792
	v_mov_b32_e32 v24, 0
	s_waitcnt vmcnt(0)
	v_cmp_ne_u16_e32 vcc_lo, 0, v23
	v_cndmask_b32_e64 v23, 0, 1, vcc_lo
	s_or_b32 exec_lo, exec_lo, s2
	s_delay_alu instid0(SALU_CYCLE_1)
	s_mov_b32 s2, exec_lo
	v_cmpx_gt_u32_e64 s14, v74
	s_cbranch_execz .LBB22_12
.LBB22_176:
	global_load_u8 v1, v[33:34], off offset:2048
	v_mov_b32_e32 v2, 0
	s_waitcnt vmcnt(0)
	v_cmp_ne_u16_e32 vcc_lo, 0, v1
	v_cndmask_b32_e64 v1, 0, 1, vcc_lo
	s_or_b32 exec_lo, exec_lo, s2
	s_delay_alu instid0(SALU_CYCLE_1)
	s_mov_b32 s2, exec_lo
	v_cmpx_gt_u32_e64 s14, v73
	s_cbranch_execz .LBB22_13
.LBB22_177:
	global_load_u8 v3, v[33:34], off offset:2304
	v_mov_b32_e32 v4, 0
	s_waitcnt vmcnt(0)
	v_cmp_ne_u16_e32 vcc_lo, 0, v3
	v_cndmask_b32_e64 v3, 0, 1, vcc_lo
	s_or_b32 exec_lo, exec_lo, s2
	s_delay_alu instid0(SALU_CYCLE_1)
	s_mov_b32 s2, exec_lo
	v_cmpx_gt_u32_e64 s14, v72
	s_cbranch_execz .LBB22_14
.LBB22_178:
	global_load_u8 v5, v[33:34], off offset:2560
	v_mov_b32_e32 v6, 0
	s_waitcnt vmcnt(0)
	v_cmp_ne_u16_e32 vcc_lo, 0, v5
	v_cndmask_b32_e64 v5, 0, 1, vcc_lo
	s_or_b32 exec_lo, exec_lo, s2
	s_delay_alu instid0(SALU_CYCLE_1)
	s_mov_b32 s2, exec_lo
	v_cmpx_gt_u32_e64 s14, v71
	s_cbranch_execz .LBB22_15
.LBB22_179:
	global_load_u8 v7, v[33:34], off offset:2816
	v_mov_b32_e32 v8, 0
	s_waitcnt vmcnt(0)
	v_cmp_ne_u16_e32 vcc_lo, 0, v7
	v_cndmask_b32_e64 v7, 0, 1, vcc_lo
	s_or_b32 exec_lo, exec_lo, s2
	s_delay_alu instid0(SALU_CYCLE_1)
	s_mov_b32 s2, exec_lo
	v_cmpx_gt_u32_e64 s14, v70
	s_cbranch_execz .LBB22_16
.LBB22_180:
	global_load_u8 v9, v[33:34], off offset:3072
	v_mov_b32_e32 v10, 0
	s_waitcnt vmcnt(0)
	v_cmp_ne_u16_e32 vcc_lo, 0, v9
	v_cndmask_b32_e64 v9, 0, 1, vcc_lo
	s_or_b32 exec_lo, exec_lo, s2
	s_delay_alu instid0(SALU_CYCLE_1)
	s_mov_b32 s2, exec_lo
	v_cmpx_gt_u32_e64 s14, v69
	s_cbranch_execz .LBB22_17
.LBB22_181:
	global_load_u8 v11, v[33:34], off offset:3328
	v_mov_b32_e32 v12, 0
	s_waitcnt vmcnt(0)
	v_cmp_ne_u16_e32 vcc_lo, 0, v11
	v_cndmask_b32_e64 v11, 0, 1, vcc_lo
	s_or_b32 exec_lo, exec_lo, s2
	s_delay_alu instid0(SALU_CYCLE_1)
	s_mov_b32 s2, exec_lo
	v_cmpx_gt_u32_e64 s14, v68
	s_cbranch_execz .LBB22_18
.LBB22_182:
	global_load_u8 v13, v[33:34], off offset:3584
	v_mov_b32_e32 v14, 0
	s_waitcnt vmcnt(0)
	v_cmp_ne_u16_e32 vcc_lo, 0, v13
	v_cndmask_b32_e64 v13, 0, 1, vcc_lo
	s_or_b32 exec_lo, exec_lo, s2
	s_delay_alu instid0(SALU_CYCLE_1)
	s_mov_b32 s2, exec_lo
	v_cmpx_gt_u32_e64 s14, v67
	s_cbranch_execnz .LBB22_19
	s_branch .LBB22_20
.LBB22_183:
	s_waitcnt lgkmcnt(15)
	global_store_b64 v[34:35], v[4:5], off
	s_or_b32 exec_lo, exec_lo, s2
	s_delay_alu instid0(SALU_CYCLE_1)
	s_mov_b32 s2, exec_lo
	v_cmpx_gt_u32_e64 s14, v81
	s_cbranch_execz .LBB22_97
.LBB22_184:
	s_waitcnt lgkmcnt(14)
	global_store_b64 v[34:35], v[2:3], off offset:2048
	s_or_b32 exec_lo, exec_lo, s2
	s_delay_alu instid0(SALU_CYCLE_1)
	s_mov_b32 s2, exec_lo
	v_cmpx_gt_u32_e64 s14, v80
	s_cbranch_execz .LBB22_98
.LBB22_185:
	v_add_co_u32 v36, vcc_lo, 0x1000, v34
	v_add_co_ci_u32_e32 v37, vcc_lo, 0, v35, vcc_lo
	s_waitcnt lgkmcnt(13)
	global_store_b64 v[36:37], v[6:7], off
	s_or_b32 exec_lo, exec_lo, s2
	s_delay_alu instid0(SALU_CYCLE_1)
	s_mov_b32 s2, exec_lo
	v_cmpx_gt_u32_e64 s14, v79
	s_cbranch_execz .LBB22_99
.LBB22_186:
	v_add_co_u32 v36, vcc_lo, 0x1000, v34
	v_add_co_ci_u32_e32 v37, vcc_lo, 0, v35, vcc_lo
	s_waitcnt lgkmcnt(12)
	global_store_b64 v[36:37], v[8:9], off offset:2048
	s_or_b32 exec_lo, exec_lo, s2
	s_delay_alu instid0(SALU_CYCLE_1)
	s_mov_b32 s2, exec_lo
	v_cmpx_gt_u32_e64 s14, v78
	s_cbranch_execz .LBB22_100
.LBB22_187:
	v_add_co_u32 v36, vcc_lo, 0x2000, v34
	v_add_co_ci_u32_e32 v37, vcc_lo, 0, v35, vcc_lo
	s_waitcnt lgkmcnt(11)
	global_store_b64 v[36:37], v[10:11], off
	s_or_b32 exec_lo, exec_lo, s2
	s_delay_alu instid0(SALU_CYCLE_1)
	s_mov_b32 s2, exec_lo
	v_cmpx_gt_u32_e64 s14, v77
	s_cbranch_execz .LBB22_101
.LBB22_188:
	v_add_co_u32 v36, vcc_lo, 0x2000, v34
	v_add_co_ci_u32_e32 v37, vcc_lo, 0, v35, vcc_lo
	s_waitcnt lgkmcnt(10)
	global_store_b64 v[36:37], v[12:13], off offset:2048
	s_or_b32 exec_lo, exec_lo, s2
	s_delay_alu instid0(SALU_CYCLE_1)
	s_mov_b32 s2, exec_lo
	v_cmpx_gt_u32_e64 s14, v76
	s_cbranch_execz .LBB22_102
.LBB22_189:
	v_add_co_u32 v36, vcc_lo, 0x3000, v34
	v_add_co_ci_u32_e32 v37, vcc_lo, 0, v35, vcc_lo
	s_waitcnt lgkmcnt(9)
	global_store_b64 v[36:37], v[14:15], off
	s_or_b32 exec_lo, exec_lo, s2
	s_delay_alu instid0(SALU_CYCLE_1)
	s_mov_b32 s2, exec_lo
	v_cmpx_gt_u32_e64 s14, v75
	s_cbranch_execz .LBB22_103
.LBB22_190:
	v_add_co_u32 v36, vcc_lo, 0x3000, v34
	v_add_co_ci_u32_e32 v37, vcc_lo, 0, v35, vcc_lo
	s_waitcnt lgkmcnt(8)
	global_store_b64 v[36:37], v[16:17], off offset:2048
	s_or_b32 exec_lo, exec_lo, s2
	s_delay_alu instid0(SALU_CYCLE_1)
	s_mov_b32 s2, exec_lo
	v_cmpx_gt_u32_e64 s14, v74
	s_cbranch_execz .LBB22_104
.LBB22_191:
	v_add_co_u32 v36, vcc_lo, 0x4000, v34
	v_add_co_ci_u32_e32 v37, vcc_lo, 0, v35, vcc_lo
	s_waitcnt lgkmcnt(7)
	global_store_b64 v[36:37], v[18:19], off
	s_or_b32 exec_lo, exec_lo, s2
	s_delay_alu instid0(SALU_CYCLE_1)
	s_mov_b32 s2, exec_lo
	v_cmpx_gt_u32_e64 s14, v73
	s_cbranch_execz .LBB22_105
.LBB22_192:
	v_add_co_u32 v36, vcc_lo, 0x4000, v34
	v_add_co_ci_u32_e32 v37, vcc_lo, 0, v35, vcc_lo
	s_waitcnt lgkmcnt(6)
	global_store_b64 v[36:37], v[20:21], off offset:2048
	s_or_b32 exec_lo, exec_lo, s2
	s_delay_alu instid0(SALU_CYCLE_1)
	s_mov_b32 s2, exec_lo
	v_cmpx_gt_u32_e64 s14, v72
	s_cbranch_execz .LBB22_106
.LBB22_193:
	v_add_co_u32 v36, vcc_lo, 0x5000, v34
	v_add_co_ci_u32_e32 v37, vcc_lo, 0, v35, vcc_lo
	s_waitcnt lgkmcnt(5)
	global_store_b64 v[36:37], v[22:23], off
	s_or_b32 exec_lo, exec_lo, s2
	s_delay_alu instid0(SALU_CYCLE_1)
	s_mov_b32 s2, exec_lo
	v_cmpx_gt_u32_e64 s14, v71
	s_cbranch_execz .LBB22_107
.LBB22_194:
	v_add_co_u32 v36, vcc_lo, 0x5000, v34
	v_add_co_ci_u32_e32 v37, vcc_lo, 0, v35, vcc_lo
	s_waitcnt lgkmcnt(4)
	global_store_b64 v[36:37], v[24:25], off offset:2048
	s_or_b32 exec_lo, exec_lo, s2
	s_delay_alu instid0(SALU_CYCLE_1)
	s_mov_b32 s2, exec_lo
	v_cmpx_gt_u32_e64 s14, v70
	s_cbranch_execz .LBB22_108
.LBB22_195:
	v_add_co_u32 v36, vcc_lo, 0x6000, v34
	v_add_co_ci_u32_e32 v37, vcc_lo, 0, v35, vcc_lo
	s_waitcnt lgkmcnt(3)
	global_store_b64 v[36:37], v[26:27], off
	s_or_b32 exec_lo, exec_lo, s2
	s_delay_alu instid0(SALU_CYCLE_1)
	s_mov_b32 s2, exec_lo
	v_cmpx_gt_u32_e64 s14, v69
	s_cbranch_execz .LBB22_109
.LBB22_196:
	v_add_co_u32 v36, vcc_lo, 0x6000, v34
	v_add_co_ci_u32_e32 v37, vcc_lo, 0, v35, vcc_lo
	s_waitcnt lgkmcnt(2)
	global_store_b64 v[36:37], v[28:29], off offset:2048
	s_or_b32 exec_lo, exec_lo, s2
	s_delay_alu instid0(SALU_CYCLE_1)
	s_mov_b32 s2, exec_lo
	v_cmpx_gt_u32_e64 s14, v68
	s_cbranch_execz .LBB22_110
.LBB22_197:
	v_add_co_u32 v36, vcc_lo, 0x7000, v34
	v_add_co_ci_u32_e32 v37, vcc_lo, 0, v35, vcc_lo
	s_waitcnt lgkmcnt(1)
	global_store_b64 v[36:37], v[30:31], off
	s_or_b32 exec_lo, exec_lo, s2
	s_delay_alu instid0(SALU_CYCLE_1)
	s_mov_b32 s2, exec_lo
	v_cmpx_gt_u32_e64 s14, v67
	s_cbranch_execnz .LBB22_111
	s_branch .LBB22_112
	.section	.rodata,"a",@progbits
	.p2align	6, 0x0
	.amdhsa_kernel _ZN7rocprim17ROCPRIM_304000_NS6detail20lookback_scan_kernelILNS1_25lookback_scan_determinismE0ELb1ENS1_19wrapped_scan_configINS0_14default_configElEEN6hipcub22TransformInputIteratorIbN2at4cuda3cub12_GLOBAL__N_111CountMaskOpEPKhlEEPlNSC_5SumOpIlEEllNS1_19lookback_scan_stateIlLb0ELb1EEEEEvT2_T3_mT5_T4_T7_jPT6_SS_bb
		.amdhsa_group_segment_fixed_size 33792
		.amdhsa_private_segment_fixed_size 0
		.amdhsa_kernarg_size 84
		.amdhsa_user_sgpr_count 15
		.amdhsa_user_sgpr_dispatch_ptr 0
		.amdhsa_user_sgpr_queue_ptr 0
		.amdhsa_user_sgpr_kernarg_segment_ptr 1
		.amdhsa_user_sgpr_dispatch_id 0
		.amdhsa_user_sgpr_private_segment_size 0
		.amdhsa_wavefront_size32 1
		.amdhsa_uses_dynamic_stack 0
		.amdhsa_enable_private_segment 0
		.amdhsa_system_sgpr_workgroup_id_x 1
		.amdhsa_system_sgpr_workgroup_id_y 0
		.amdhsa_system_sgpr_workgroup_id_z 0
		.amdhsa_system_sgpr_workgroup_info 0
		.amdhsa_system_vgpr_workitem_id 0
		.amdhsa_next_free_vgpr 96
		.amdhsa_next_free_sgpr 24
		.amdhsa_reserve_vcc 1
		.amdhsa_float_round_mode_32 0
		.amdhsa_float_round_mode_16_64 0
		.amdhsa_float_denorm_mode_32 3
		.amdhsa_float_denorm_mode_16_64 3
		.amdhsa_dx10_clamp 1
		.amdhsa_ieee_mode 1
		.amdhsa_fp16_overflow 0
		.amdhsa_workgroup_processor_mode 1
		.amdhsa_memory_ordered 1
		.amdhsa_forward_progress 0
		.amdhsa_shared_vgpr_count 0
		.amdhsa_exception_fp_ieee_invalid_op 0
		.amdhsa_exception_fp_denorm_src 0
		.amdhsa_exception_fp_ieee_div_zero 0
		.amdhsa_exception_fp_ieee_overflow 0
		.amdhsa_exception_fp_ieee_underflow 0
		.amdhsa_exception_fp_ieee_inexact 0
		.amdhsa_exception_int_div_zero 0
	.end_amdhsa_kernel
	.section	.text._ZN7rocprim17ROCPRIM_304000_NS6detail20lookback_scan_kernelILNS1_25lookback_scan_determinismE0ELb1ENS1_19wrapped_scan_configINS0_14default_configElEEN6hipcub22TransformInputIteratorIbN2at4cuda3cub12_GLOBAL__N_111CountMaskOpEPKhlEEPlNSC_5SumOpIlEEllNS1_19lookback_scan_stateIlLb0ELb1EEEEEvT2_T3_mT5_T4_T7_jPT6_SS_bb,"axG",@progbits,_ZN7rocprim17ROCPRIM_304000_NS6detail20lookback_scan_kernelILNS1_25lookback_scan_determinismE0ELb1ENS1_19wrapped_scan_configINS0_14default_configElEEN6hipcub22TransformInputIteratorIbN2at4cuda3cub12_GLOBAL__N_111CountMaskOpEPKhlEEPlNSC_5SumOpIlEEllNS1_19lookback_scan_stateIlLb0ELb1EEEEEvT2_T3_mT5_T4_T7_jPT6_SS_bb,comdat
.Lfunc_end22:
	.size	_ZN7rocprim17ROCPRIM_304000_NS6detail20lookback_scan_kernelILNS1_25lookback_scan_determinismE0ELb1ENS1_19wrapped_scan_configINS0_14default_configElEEN6hipcub22TransformInputIteratorIbN2at4cuda3cub12_GLOBAL__N_111CountMaskOpEPKhlEEPlNSC_5SumOpIlEEllNS1_19lookback_scan_stateIlLb0ELb1EEEEEvT2_T3_mT5_T4_T7_jPT6_SS_bb, .Lfunc_end22-_ZN7rocprim17ROCPRIM_304000_NS6detail20lookback_scan_kernelILNS1_25lookback_scan_determinismE0ELb1ENS1_19wrapped_scan_configINS0_14default_configElEEN6hipcub22TransformInputIteratorIbN2at4cuda3cub12_GLOBAL__N_111CountMaskOpEPKhlEEPlNSC_5SumOpIlEEllNS1_19lookback_scan_stateIlLb0ELb1EEEEEvT2_T3_mT5_T4_T7_jPT6_SS_bb
                                        ; -- End function
	.section	.AMDGPU.csdata,"",@progbits
; Kernel info:
; codeLenInByte = 11184
; NumSgprs: 26
; NumVgprs: 96
; ScratchSize: 0
; MemoryBound: 0
; FloatMode: 240
; IeeeMode: 1
; LDSByteSize: 33792 bytes/workgroup (compile time only)
; SGPRBlocks: 3
; VGPRBlocks: 11
; NumSGPRsForWavesPerEU: 26
; NumVGPRsForWavesPerEU: 96
; Occupancy: 6
; WaveLimiterHint : 1
; COMPUTE_PGM_RSRC2:SCRATCH_EN: 0
; COMPUTE_PGM_RSRC2:USER_SGPR: 15
; COMPUTE_PGM_RSRC2:TRAP_HANDLER: 0
; COMPUTE_PGM_RSRC2:TGID_X_EN: 1
; COMPUTE_PGM_RSRC2:TGID_Y_EN: 0
; COMPUTE_PGM_RSRC2:TGID_Z_EN: 0
; COMPUTE_PGM_RSRC2:TIDIG_COMP_CNT: 0
	.section	.text._ZN7rocprim17ROCPRIM_304000_NS6detail18single_scan_kernelILb1ENS1_19wrapped_scan_configINS0_14default_configElEEN6hipcub22TransformInputIteratorIbN2at4cuda3cub12_GLOBAL__N_111CountMaskOpEPKhlEEPlNSB_5SumOpIlEEllEEvT1_mT4_T2_T3_,"axG",@progbits,_ZN7rocprim17ROCPRIM_304000_NS6detail18single_scan_kernelILb1ENS1_19wrapped_scan_configINS0_14default_configElEEN6hipcub22TransformInputIteratorIbN2at4cuda3cub12_GLOBAL__N_111CountMaskOpEPKhlEEPlNSB_5SumOpIlEEllEEvT1_mT4_T2_T3_,comdat
	.globl	_ZN7rocprim17ROCPRIM_304000_NS6detail18single_scan_kernelILb1ENS1_19wrapped_scan_configINS0_14default_configElEEN6hipcub22TransformInputIteratorIbN2at4cuda3cub12_GLOBAL__N_111CountMaskOpEPKhlEEPlNSB_5SumOpIlEEllEEvT1_mT4_T2_T3_ ; -- Begin function _ZN7rocprim17ROCPRIM_304000_NS6detail18single_scan_kernelILb1ENS1_19wrapped_scan_configINS0_14default_configElEEN6hipcub22TransformInputIteratorIbN2at4cuda3cub12_GLOBAL__N_111CountMaskOpEPKhlEEPlNSB_5SumOpIlEEllEEvT1_mT4_T2_T3_
	.p2align	8
	.type	_ZN7rocprim17ROCPRIM_304000_NS6detail18single_scan_kernelILb1ENS1_19wrapped_scan_configINS0_14default_configElEEN6hipcub22TransformInputIteratorIbN2at4cuda3cub12_GLOBAL__N_111CountMaskOpEPKhlEEPlNSB_5SumOpIlEEllEEvT1_mT4_T2_T3_,@function
_ZN7rocprim17ROCPRIM_304000_NS6detail18single_scan_kernelILb1ENS1_19wrapped_scan_configINS0_14default_configElEEN6hipcub22TransformInputIteratorIbN2at4cuda3cub12_GLOBAL__N_111CountMaskOpEPKhlEEPlNSB_5SumOpIlEEllEEvT1_mT4_T2_T3_: ; @_ZN7rocprim17ROCPRIM_304000_NS6detail18single_scan_kernelILb1ENS1_19wrapped_scan_configINS0_14default_configElEEN6hipcub22TransformInputIteratorIbN2at4cuda3cub12_GLOBAL__N_111CountMaskOpEPKhlEEPlNSB_5SumOpIlEEllEEvT1_mT4_T2_T3_
; %bb.0:
	s_clause 0x1
	s_load_b64 s[4:5], s[0:1], 0x0
	s_load_b128 s[20:23], s[0:1], 0x10
	v_mov_b32_e32 v30, 0
	s_mov_b32 s3, 0
	s_waitcnt lgkmcnt(0)
	global_load_u8 v1, v30, s[4:5]
	v_add_co_u32 v33, s2, s4, v0
	s_delay_alu instid0(VALU_DEP_1)
	v_add_co_ci_u32_e64 v34, null, s5, 0, s2
	s_waitcnt vmcnt(0)
	v_cmp_ne_u16_e32 vcc_lo, 0, v1
	v_cndmask_b32_e64 v31, 0, 1, vcc_lo
	v_mov_b32_e32 v32, s3
	v_cmp_gt_u32_e32 vcc_lo, s20, v0
	s_delay_alu instid0(VALU_DEP_3)
	v_mov_b32_e32 v25, v31
	v_dual_mov_b32 v29, v31 :: v_dual_mov_b32 v26, v30
	v_dual_mov_b32 v23, v31 :: v_dual_mov_b32 v24, v30
	;; [unrolled: 1-line block ×14, first 2 shown]
	s_and_saveexec_b32 s4, vcc_lo
	s_cbranch_execz .LBB23_2
; %bb.1:
	global_load_u8 v31, v[33:34], off
	v_mov_b32_e32 v32, s3
	s_waitcnt vmcnt(0)
	v_cmp_ne_u16_e64 s2, 0, v31
	s_delay_alu instid0(VALU_DEP_1)
	v_cndmask_b32_e64 v31, 0, 1, s2
.LBB23_2:
	s_or_b32 exec_lo, exec_lo, s4
	v_or_b32_e32 v35, 0x100, v0
	s_delay_alu instid0(VALU_DEP_1) | instskip(NEXT) | instid1(VALU_DEP_1)
	v_cmp_gt_u32_e64 s2, s20, v35
	s_and_saveexec_b32 s4, s2
	s_cbranch_execz .LBB23_4
; %bb.3:
	global_load_u8 v29, v[33:34], off offset:256
	v_mov_b32_e32 v30, 0
	s_waitcnt vmcnt(0)
	v_cmp_ne_u16_e64 s3, 0, v29
	s_delay_alu instid0(VALU_DEP_1)
	v_cndmask_b32_e64 v29, 0, 1, s3
.LBB23_4:
	s_or_b32 exec_lo, exec_lo, s4
	v_or_b32_e32 v36, 0x200, v0
	s_delay_alu instid0(VALU_DEP_1) | instskip(NEXT) | instid1(VALU_DEP_1)
	v_cmp_gt_u32_e64 s3, s20, v36
	s_and_saveexec_b32 s5, s3
	s_cbranch_execz .LBB23_6
; %bb.5:
	global_load_u8 v25, v[33:34], off offset:512
	v_mov_b32_e32 v26, 0
	s_waitcnt vmcnt(0)
	v_cmp_ne_u16_e64 s4, 0, v25
	s_delay_alu instid0(VALU_DEP_1)
	v_cndmask_b32_e64 v25, 0, 1, s4
.LBB23_6:
	;; [unrolled: 14-line block ×14, first 2 shown]
	s_or_b32 exec_lo, exec_lo, s17
	s_load_b64 s[16:17], s[0:1], 0x20
	v_or_b32_e32 v49, 0xf00, v0
	s_delay_alu instid0(VALU_DEP_1) | instskip(NEXT) | instid1(VALU_DEP_1)
	v_cmp_gt_u32_e64 s0, s20, v49
	s_and_saveexec_b32 s18, s0
	s_cbranch_execz .LBB23_32
; %bb.31:
	global_load_u8 v5, v[33:34], off offset:3840
	v_mov_b32_e32 v6, 0
	s_waitcnt vmcnt(0)
	v_cmp_ne_u16_e64 s1, 0, v5
	s_delay_alu instid0(VALU_DEP_1)
	v_cndmask_b32_e64 v5, 0, 1, s1
.LBB23_32:
	s_or_b32 exec_lo, exec_lo, s18
	v_lshrrev_b32_e32 v33, 2, v0
	v_lshrrev_b32_e32 v34, 2, v35
	v_lshlrev_b32_e32 v53, 3, v0
	v_lshrrev_b32_e32 v35, 2, v36
	v_lshrrev_b32_e32 v36, 2, v37
	v_and_b32_e32 v33, 56, v33
	v_and_b32_e32 v34, 0x78, v34
	v_lshrrev_b32_e32 v37, 2, v38
	v_lshrrev_b32_e32 v38, 2, v39
	s_mov_b32 s18, exec_lo
	v_add_nc_u32_e32 v54, v33, v53
	v_add_nc_u32_e32 v55, v34, v53
	v_and_b32_e32 v33, 0xf8, v35
	v_and_b32_e32 v34, 0xf8, v36
	;; [unrolled: 1-line block ×3, first 2 shown]
	ds_store_b64 v54, v[31:32]
	ds_store_b64 v55, v[29:30] offset:2048
	v_and_b32_e32 v29, 0x1f8, v38
	v_add_nc_u32_e32 v56, v33, v53
	v_add_nc_u32_e32 v57, v34, v53
	v_lshrrev_b32_e32 v30, 2, v40
	v_add_nc_u32_e32 v58, v35, v53
	v_add_nc_u32_e32 v59, v29, v53
	ds_store_b64 v56, v[25:26] offset:4096
	ds_store_b64 v57, v[23:24] offset:6144
	;; [unrolled: 1-line block ×3, first 2 shown]
	v_and_b32_e32 v23, 0x1f8, v30
	v_lshrrev_b32_e32 v24, 2, v41
	ds_store_b64 v59, v[21:22] offset:10240
	v_lshrrev_b32_e32 v21, 2, v42
	v_lshrrev_b32_e32 v22, 2, v43
	v_add_nc_u32_e32 v60, v23, v53
	v_and_b32_e32 v23, 0x1f8, v24
	v_lshrrev_b32_e32 v24, 2, v44
	v_and_b32_e32 v21, 0x3f8, v21
	v_and_b32_e32 v22, 0x3f8, v22
	ds_store_b64 v60, v[19:20] offset:12288
	v_add_nc_u32_e32 v61, v23, v53
	v_and_b32_e32 v19, 0x3f8, v24
	v_add_nc_u32_e32 v62, v21, v53
	v_lshrrev_b32_e32 v20, 2, v45
	v_add_nc_u32_e32 v63, v22, v53
	ds_store_b64 v61, v[15:16] offset:14336
	v_add_nc_u32_e32 v64, v19, v53
	ds_store_b64 v62, v[13:14] offset:16384
	ds_store_b64 v63, v[17:18] offset:18432
	v_and_b32_e32 v13, 0x3f8, v20
	v_lshrrev_b32_e32 v14, 2, v46
	ds_store_b64 v64, v[11:12] offset:20480
	v_lshrrev_b32_e32 v11, 2, v47
	v_lshrrev_b32_e32 v12, 2, v48
	v_add_nc_u32_e32 v65, v13, v53
	v_and_b32_e32 v13, 0x3f8, v14
	v_lshrrev_b32_e32 v14, 2, v49
	v_and_b32_e32 v11, 0x3f8, v11
	v_and_b32_e32 v12, 0x3f8, v12
	ds_store_b64 v65, v[9:10] offset:22528
	v_lshlrev_b32_e32 v10, 4, v0
	v_and_b32_e32 v9, 0x3f8, v14
	v_add_nc_u32_e32 v67, v11, v53
	v_lshrrev_b32_e32 v11, 1, v0
	v_add_nc_u32_e32 v66, v13, v53
	v_add_nc_u32_e32 v68, v12, v53
	;; [unrolled: 1-line block ×3, first 2 shown]
	ds_store_b64 v66, v[1:2] offset:24576
	ds_store_b64 v67, v[3:4] offset:26624
	;; [unrolled: 1-line block ×3, first 2 shown]
	v_add_lshl_u32 v70, v11, v10, 3
	ds_store_b64 v69, v[5:6] offset:30720
	s_waitcnt lgkmcnt(0)
	s_barrier
	buffer_gl0_inv
	ds_load_2addr_b64 v[1:4], v70 offset1:1
	ds_load_2addr_b64 v[5:8], v70 offset0:2 offset1:3
	ds_load_2addr_b64 v[9:12], v70 offset0:4 offset1:5
	;; [unrolled: 1-line block ×6, first 2 shown]
	s_waitcnt lgkmcnt(6)
	v_add_co_u32 v13, s1, v3, v1
	s_delay_alu instid0(VALU_DEP_1) | instskip(SKIP_1) | instid1(VALU_DEP_2)
	v_add_co_ci_u32_e64 v14, s1, v4, v2, s1
	s_waitcnt lgkmcnt(5)
	v_add_co_u32 v13, s1, v13, v5
	s_delay_alu instid0(VALU_DEP_1) | instskip(NEXT) | instid1(VALU_DEP_2)
	v_add_co_ci_u32_e64 v14, s1, v14, v6, s1
	v_add_co_u32 v13, s1, v13, v7
	s_delay_alu instid0(VALU_DEP_1) | instskip(SKIP_1) | instid1(VALU_DEP_2)
	v_add_co_ci_u32_e64 v14, s1, v14, v8, s1
	s_waitcnt lgkmcnt(4)
	v_add_co_u32 v13, s1, v13, v9
	s_delay_alu instid0(VALU_DEP_1) | instskip(NEXT) | instid1(VALU_DEP_2)
	v_add_co_ci_u32_e64 v14, s1, v14, v10, s1
	;; [unrolled: 7-line block ×4, first 2 shown]
	v_add_co_u32 v33, s1, v13, v31
	s_delay_alu instid0(VALU_DEP_1) | instskip(SKIP_3) | instid1(VALU_DEP_1)
	v_add_co_ci_u32_e64 v34, s1, v14, v32, s1
	ds_load_2addr_b64 v[13:16], v70 offset0:14 offset1:15
	s_waitcnt lgkmcnt(2)
	v_add_co_u32 v33, s1, v33, v21
	v_add_co_ci_u32_e64 v34, s1, v34, v22, s1
	s_waitcnt lgkmcnt(0)
	s_delay_alu instid0(VALU_DEP_2) | instskip(NEXT) | instid1(VALU_DEP_1)
	v_add_co_u32 v33, s1, v33, v23
	v_add_co_ci_u32_e64 v34, s1, v34, v24, s1
	s_barrier
	s_delay_alu instid0(VALU_DEP_2) | instskip(NEXT) | instid1(VALU_DEP_1)
	v_add_co_u32 v33, s1, v33, v17
	v_add_co_ci_u32_e64 v34, s1, v34, v18, s1
	buffer_gl0_inv
	v_add_co_u32 v33, s1, v33, v19
	s_delay_alu instid0(VALU_DEP_1) | instskip(NEXT) | instid1(VALU_DEP_2)
	v_add_co_ci_u32_e64 v34, s1, v34, v20, s1
	v_add_co_u32 v33, s1, v33, v13
	s_delay_alu instid0(VALU_DEP_1) | instskip(NEXT) | instid1(VALU_DEP_2)
	v_add_co_ci_u32_e64 v34, s1, v34, v14, s1
	v_add_co_u32 v15, s1, v33, v15
	s_delay_alu instid0(VALU_DEP_1)
	v_add_co_ci_u32_e64 v16, s1, v34, v16, s1
	ds_store_b64 v54, v[15:16]
	s_waitcnt lgkmcnt(0)
	s_barrier
	buffer_gl0_inv
	v_cmpx_gt_u32_e32 32, v0
	s_cbranch_execz .LBB23_42
; %bb.33:
	v_lshlrev_b32_e32 v33, 1, v0
	v_mbcnt_lo_u32_b32 v72, -1, 0
	s_mov_b32 s19, exec_lo
	s_delay_alu instid0(VALU_DEP_2) | instskip(NEXT) | instid1(VALU_DEP_2)
	v_and_b32_e32 v33, 0x1f8, v33
	v_and_b32_e32 v73, 15, v72
	s_delay_alu instid0(VALU_DEP_2)
	v_lshl_or_b32 v71, v0, 6, v33
	ds_load_2addr_b64 v[33:36], v71 offset1:1
	ds_load_2addr_b64 v[37:40], v71 offset0:2 offset1:3
	ds_load_2addr_b64 v[41:44], v71 offset0:4 offset1:5
	;; [unrolled: 1-line block ×3, first 2 shown]
	s_waitcnt lgkmcnt(3)
	v_add_co_u32 v49, s1, v35, v33
	s_delay_alu instid0(VALU_DEP_1) | instskip(SKIP_1) | instid1(VALU_DEP_2)
	v_add_co_ci_u32_e64 v50, s1, v36, v34, s1
	s_waitcnt lgkmcnt(2)
	v_add_co_u32 v49, s1, v49, v37
	s_delay_alu instid0(VALU_DEP_1) | instskip(NEXT) | instid1(VALU_DEP_2)
	v_add_co_ci_u32_e64 v50, s1, v50, v38, s1
	v_add_co_u32 v49, s1, v49, v39
	s_delay_alu instid0(VALU_DEP_1) | instskip(SKIP_1) | instid1(VALU_DEP_2)
	v_add_co_ci_u32_e64 v50, s1, v50, v40, s1
	s_waitcnt lgkmcnt(1)
	v_add_co_u32 v49, s1, v49, v41
	s_delay_alu instid0(VALU_DEP_1) | instskip(NEXT) | instid1(VALU_DEP_2)
	v_add_co_ci_u32_e64 v50, s1, v50, v42, s1
	;; [unrolled: 7-line block ×3, first 2 shown]
	v_add_co_u32 v49, s1, v49, v47
	s_delay_alu instid0(VALU_DEP_1) | instskip(NEXT) | instid1(VALU_DEP_2)
	v_add_co_ci_u32_e64 v50, s1, v50, v48, s1
	v_mov_b32_dpp v75, v49 row_shr:1 row_mask:0xf bank_mask:0xf
	s_delay_alu instid0(VALU_DEP_2)
	v_mov_b32_e32 v52, v50
	v_mov_b32_dpp v74, v50 row_shr:1 row_mask:0xf bank_mask:0xf
	v_mov_b32_e32 v51, v49
	v_cmpx_ne_u32_e32 0, v73
; %bb.34:
	v_add_co_u32 v49, s1, v49, v75
	s_delay_alu instid0(VALU_DEP_1) | instskip(NEXT) | instid1(VALU_DEP_2)
	v_add_co_ci_u32_e64 v50, s1, 0, v50, s1
	v_add_co_u32 v51, s1, 0, v49
	s_delay_alu instid0(VALU_DEP_1) | instskip(NEXT) | instid1(VALU_DEP_1)
	v_add_co_ci_u32_e64 v52, s1, v74, v50, s1
	v_mov_b32_e32 v50, v52
; %bb.35:
	s_or_b32 exec_lo, exec_lo, s19
	v_mov_b32_dpp v75, v49 row_shr:2 row_mask:0xf bank_mask:0xf
	s_delay_alu instid0(VALU_DEP_2)
	v_mov_b32_dpp v74, v50 row_shr:2 row_mask:0xf bank_mask:0xf
	s_mov_b32 s19, exec_lo
	v_cmpx_lt_u32_e32 1, v73
; %bb.36:
	s_delay_alu instid0(VALU_DEP_3) | instskip(NEXT) | instid1(VALU_DEP_1)
	v_add_co_u32 v49, s1, v51, v75
	v_add_co_ci_u32_e64 v50, s1, 0, v52, s1
	s_delay_alu instid0(VALU_DEP_2) | instskip(NEXT) | instid1(VALU_DEP_1)
	v_add_co_u32 v51, s1, 0, v49
	v_add_co_ci_u32_e64 v52, s1, v74, v50, s1
	s_delay_alu instid0(VALU_DEP_1)
	v_mov_b32_e32 v50, v52
; %bb.37:
	s_or_b32 exec_lo, exec_lo, s19
	v_mov_b32_dpp v75, v49 row_shr:4 row_mask:0xf bank_mask:0xf
	s_delay_alu instid0(VALU_DEP_2)
	v_mov_b32_dpp v74, v50 row_shr:4 row_mask:0xf bank_mask:0xf
	s_mov_b32 s19, exec_lo
	v_cmpx_lt_u32_e32 3, v73
; %bb.38:
	s_delay_alu instid0(VALU_DEP_3) | instskip(NEXT) | instid1(VALU_DEP_1)
	v_add_co_u32 v49, s1, v51, v75
	v_add_co_ci_u32_e64 v50, s1, 0, v52, s1
	s_delay_alu instid0(VALU_DEP_2) | instskip(NEXT) | instid1(VALU_DEP_1)
	v_add_co_u32 v51, s1, 0, v49
	v_add_co_ci_u32_e64 v52, s1, v74, v50, s1
	s_delay_alu instid0(VALU_DEP_1)
	v_mov_b32_e32 v50, v52
; %bb.39:
	s_or_b32 exec_lo, exec_lo, s19
	v_mov_b32_dpp v75, v49 row_shr:8 row_mask:0xf bank_mask:0xf
	s_delay_alu instid0(VALU_DEP_2)
	v_mov_b32_dpp v74, v50 row_shr:8 row_mask:0xf bank_mask:0xf
	s_mov_b32 s19, exec_lo
	v_cmpx_lt_u32_e32 7, v73
; %bb.40:
	s_delay_alu instid0(VALU_DEP_3) | instskip(NEXT) | instid1(VALU_DEP_1)
	v_add_co_u32 v49, s1, v51, v75
	v_add_co_ci_u32_e64 v50, s1, 0, v52, s1
	s_delay_alu instid0(VALU_DEP_2) | instskip(NEXT) | instid1(VALU_DEP_1)
	v_add_co_u32 v51, s1, 0, v49
	v_add_co_ci_u32_e64 v52, s1, v74, v50, s1
	s_delay_alu instid0(VALU_DEP_1)
	v_mov_b32_e32 v50, v52
; %bb.41:
	s_or_b32 exec_lo, exec_lo, s19
	ds_swizzle_b32 v73, v49 offset:swizzle(BROADCAST,32,15)
	ds_swizzle_b32 v74, v50 offset:swizzle(BROADCAST,32,15)
	v_add_nc_u32_e32 v75, -1, v72
	v_and_b32_e32 v76, 16, v72
	s_delay_alu instid0(VALU_DEP_2) | instskip(NEXT) | instid1(VALU_DEP_1)
	v_cmp_gt_i32_e64 s1, 0, v75
	v_cndmask_b32_e64 v72, v75, v72, s1
	s_delay_alu instid0(VALU_DEP_1) | instskip(SKIP_2) | instid1(VALU_DEP_1)
	v_lshlrev_b32_e32 v72, 2, v72
	s_waitcnt lgkmcnt(1)
	v_add_co_u32 v51, s1, v51, v73
	v_add_co_ci_u32_e64 v52, s1, 0, v52, s1
	v_cmp_eq_u32_e64 s1, 0, v76
	s_delay_alu instid0(VALU_DEP_1) | instskip(SKIP_1) | instid1(VALU_DEP_3)
	v_cndmask_b32_e64 v49, v51, v49, s1
	s_waitcnt lgkmcnt(0)
	v_add_nc_u32_e32 v51, v74, v52
	ds_bpermute_b32 v49, v72, v49
	v_cndmask_b32_e64 v50, v51, v50, s1
	ds_bpermute_b32 v50, v72, v50
	s_waitcnt lgkmcnt(1)
	v_add_co_u32 v33, s1, v33, v49
	s_delay_alu instid0(VALU_DEP_1) | instskip(NEXT) | instid1(VALU_DEP_2)
	v_add_co_ci_u32_e64 v34, s1, 0, v34, s1
	v_add_co_u32 v33, s1, v33, 0
	s_waitcnt lgkmcnt(0)
	s_delay_alu instid0(VALU_DEP_2) | instskip(SKIP_1) | instid1(VALU_DEP_1)
	v_add_co_ci_u32_e64 v34, s1, v34, v50, s1
	v_cmp_eq_u32_e64 s1, 0, v0
	v_cndmask_b32_e64 v15, v33, v15, s1
	s_delay_alu instid0(VALU_DEP_3) | instskip(NEXT) | instid1(VALU_DEP_2)
	v_cndmask_b32_e64 v16, v34, v16, s1
	v_add_co_u32 v33, s1, v15, v35
	s_delay_alu instid0(VALU_DEP_1) | instskip(NEXT) | instid1(VALU_DEP_2)
	v_add_co_ci_u32_e64 v34, s1, v16, v36, s1
	v_add_co_u32 v35, s1, v33, v37
	s_delay_alu instid0(VALU_DEP_1) | instskip(NEXT) | instid1(VALU_DEP_2)
	v_add_co_ci_u32_e64 v36, s1, v34, v38, s1
	;; [unrolled: 3-line block ×6, first 2 shown]
	v_add_co_u32 v45, s1, v43, v47
	s_delay_alu instid0(VALU_DEP_1)
	v_add_co_ci_u32_e64 v46, s1, v44, v48, s1
	ds_store_2addr_b64 v71, v[15:16], v[33:34] offset1:1
	ds_store_2addr_b64 v71, v[35:36], v[37:38] offset0:2 offset1:3
	ds_store_2addr_b64 v71, v[39:40], v[41:42] offset0:4 offset1:5
	;; [unrolled: 1-line block ×3, first 2 shown]
.LBB23_42:
	s_or_b32 exec_lo, exec_lo, s18
	v_dual_mov_b32 v15, s22 :: v_dual_mov_b32 v16, s23
	s_mov_b32 s18, exec_lo
	s_waitcnt lgkmcnt(0)
	s_barrier
	buffer_gl0_inv
	v_cmpx_ne_u32_e32 0, v0
	s_cbranch_execz .LBB23_44
; %bb.43:
	v_add_nc_u32_e32 v0, -1, v0
	s_delay_alu instid0(VALU_DEP_1) | instskip(NEXT) | instid1(VALU_DEP_1)
	v_lshrrev_b32_e32 v15, 5, v0
	v_add_lshl_u32 v0, v15, v0, 3
	ds_load_b64 v[15:16], v0
	s_waitcnt lgkmcnt(0)
	v_add_co_u32 v15, s1, v15, s22
	s_delay_alu instid0(VALU_DEP_1)
	v_add_co_ci_u32_e64 v16, s1, s23, v16, s1
.LBB23_44:
	s_or_b32 exec_lo, exec_lo, s18
	s_delay_alu instid0(VALU_DEP_2) | instskip(NEXT) | instid1(VALU_DEP_1)
	v_add_co_u32 v0, s1, v15, v1
	v_add_co_ci_u32_e64 v1, s1, v16, v2, s1
	s_delay_alu instid0(VALU_DEP_2) | instskip(NEXT) | instid1(VALU_DEP_1)
	v_add_co_u32 v2, s1, v0, v3
	v_add_co_ci_u32_e64 v3, s1, v1, v4, s1
	s_barrier
	s_delay_alu instid0(VALU_DEP_2) | instskip(NEXT) | instid1(VALU_DEP_1)
	v_add_co_u32 v4, s1, v2, v5
	v_add_co_ci_u32_e64 v5, s1, v3, v6, s1
	buffer_gl0_inv
	v_add_co_u32 v6, s1, v4, v7
	s_delay_alu instid0(VALU_DEP_1) | instskip(SKIP_3) | instid1(VALU_DEP_1)
	v_add_co_ci_u32_e64 v7, s1, v5, v8, s1
	ds_store_2addr_b64 v70, v[15:16], v[0:1] offset1:1
	ds_store_2addr_b64 v70, v[2:3], v[4:5] offset0:2 offset1:3
	v_add_co_u32 v8, s1, v6, v9
	v_add_co_ci_u32_e64 v9, s1, v7, v10, s1
	s_delay_alu instid0(VALU_DEP_2) | instskip(NEXT) | instid1(VALU_DEP_1)
	v_add_co_u32 v10, s1, v8, v11
	v_add_co_ci_u32_e64 v11, s1, v9, v12, s1
	s_delay_alu instid0(VALU_DEP_2) | instskip(NEXT) | instid1(VALU_DEP_1)
	;; [unrolled: 3-line block ×10, first 2 shown]
	v_add_co_u32 v0, s1, v19, v13
	v_add_co_ci_u32_e64 v1, s1, v20, v14, s1
	ds_store_2addr_b64 v70, v[6:7], v[8:9] offset0:4 offset1:5
	ds_store_2addr_b64 v70, v[10:11], v[25:26] offset0:6 offset1:7
	;; [unrolled: 1-line block ×6, first 2 shown]
	s_waitcnt lgkmcnt(0)
	s_barrier
	buffer_gl0_inv
	ds_load_b64 v[30:31], v55 offset:2048
	ds_load_b64 v[28:29], v56 offset:4096
	;; [unrolled: 1-line block ×15, first 2 shown]
	v_add_co_u32 v2, s1, s16, v53
	s_delay_alu instid0(VALU_DEP_1)
	v_add_co_ci_u32_e64 v3, null, s17, 0, s1
	s_and_saveexec_b32 s1, vcc_lo
	s_cbranch_execnz .LBB23_61
; %bb.45:
	s_or_b32 exec_lo, exec_lo, s1
	s_and_saveexec_b32 s1, s2
	s_cbranch_execnz .LBB23_62
.LBB23_46:
	s_or_b32 exec_lo, exec_lo, s1
	s_and_saveexec_b32 s1, s3
	s_cbranch_execnz .LBB23_63
.LBB23_47:
	s_or_b32 exec_lo, exec_lo, s1
	s_and_saveexec_b32 s1, s4
	s_cbranch_execnz .LBB23_64
.LBB23_48:
	s_or_b32 exec_lo, exec_lo, s1
	s_and_saveexec_b32 s1, s5
	s_cbranch_execnz .LBB23_65
.LBB23_49:
	s_or_b32 exec_lo, exec_lo, s1
	s_and_saveexec_b32 s1, s6
	s_cbranch_execnz .LBB23_66
.LBB23_50:
	s_or_b32 exec_lo, exec_lo, s1
	s_and_saveexec_b32 s1, s7
	s_cbranch_execnz .LBB23_67
.LBB23_51:
	s_or_b32 exec_lo, exec_lo, s1
	s_and_saveexec_b32 s1, s8
	s_cbranch_execnz .LBB23_68
.LBB23_52:
	s_or_b32 exec_lo, exec_lo, s1
	s_and_saveexec_b32 s1, s9
	s_cbranch_execnz .LBB23_69
.LBB23_53:
	s_or_b32 exec_lo, exec_lo, s1
	s_and_saveexec_b32 s1, s10
	s_cbranch_execnz .LBB23_70
.LBB23_54:
	s_or_b32 exec_lo, exec_lo, s1
	s_and_saveexec_b32 s1, s11
	s_cbranch_execnz .LBB23_71
.LBB23_55:
	s_or_b32 exec_lo, exec_lo, s1
	s_and_saveexec_b32 s1, s12
	s_cbranch_execnz .LBB23_72
.LBB23_56:
	s_or_b32 exec_lo, exec_lo, s1
	s_and_saveexec_b32 s1, s13
	s_cbranch_execnz .LBB23_73
.LBB23_57:
	s_or_b32 exec_lo, exec_lo, s1
	s_and_saveexec_b32 s1, s14
	s_cbranch_execnz .LBB23_74
.LBB23_58:
	s_or_b32 exec_lo, exec_lo, s1
	s_and_saveexec_b32 s1, s15
	s_cbranch_execnz .LBB23_75
.LBB23_59:
	s_or_b32 exec_lo, exec_lo, s1
	s_and_saveexec_b32 s1, s0
	s_cbranch_execnz .LBB23_76
.LBB23_60:
	s_nop 0
	s_sendmsg sendmsg(MSG_DEALLOC_VGPRS)
	s_endpgm
.LBB23_61:
	ds_load_b64 v[32:33], v54
	s_waitcnt lgkmcnt(0)
	global_store_b64 v[2:3], v[32:33], off
	s_or_b32 exec_lo, exec_lo, s1
	s_and_saveexec_b32 s1, s2
	s_cbranch_execz .LBB23_46
.LBB23_62:
	s_waitcnt lgkmcnt(14)
	global_store_b64 v[2:3], v[30:31], off offset:2048
	s_or_b32 exec_lo, exec_lo, s1
	s_and_saveexec_b32 s1, s3
	s_cbranch_execz .LBB23_47
.LBB23_63:
	s_waitcnt lgkmcnt(14)
	v_add_co_u32 v30, vcc_lo, 0x1000, v2
	v_add_co_ci_u32_e32 v31, vcc_lo, 0, v3, vcc_lo
	s_waitcnt lgkmcnt(13)
	global_store_b64 v[30:31], v[28:29], off
	s_or_b32 exec_lo, exec_lo, s1
	s_and_saveexec_b32 s1, s4
	s_cbranch_execz .LBB23_48
.LBB23_64:
	s_waitcnt lgkmcnt(13)
	v_add_co_u32 v28, vcc_lo, 0x1000, v2
	v_add_co_ci_u32_e32 v29, vcc_lo, 0, v3, vcc_lo
	s_waitcnt lgkmcnt(12)
	global_store_b64 v[28:29], v[26:27], off offset:2048
	s_or_b32 exec_lo, exec_lo, s1
	s_and_saveexec_b32 s1, s5
	s_cbranch_execz .LBB23_49
.LBB23_65:
	s_waitcnt lgkmcnt(12)
	v_add_co_u32 v26, vcc_lo, 0x2000, v2
	v_add_co_ci_u32_e32 v27, vcc_lo, 0, v3, vcc_lo
	s_waitcnt lgkmcnt(11)
	global_store_b64 v[26:27], v[24:25], off
	s_or_b32 exec_lo, exec_lo, s1
	s_and_saveexec_b32 s1, s6
	s_cbranch_execz .LBB23_50
.LBB23_66:
	s_waitcnt lgkmcnt(11)
	v_add_co_u32 v24, vcc_lo, 0x2000, v2
	v_add_co_ci_u32_e32 v25, vcc_lo, 0, v3, vcc_lo
	s_waitcnt lgkmcnt(10)
	global_store_b64 v[24:25], v[22:23], off offset:2048
	s_or_b32 exec_lo, exec_lo, s1
	s_and_saveexec_b32 s1, s7
	s_cbranch_execz .LBB23_51
.LBB23_67:
	s_waitcnt lgkmcnt(10)
	v_add_co_u32 v22, vcc_lo, 0x3000, v2
	v_add_co_ci_u32_e32 v23, vcc_lo, 0, v3, vcc_lo
	s_waitcnt lgkmcnt(9)
	global_store_b64 v[22:23], v[20:21], off
	s_or_b32 exec_lo, exec_lo, s1
	s_and_saveexec_b32 s1, s8
	s_cbranch_execz .LBB23_52
.LBB23_68:
	s_waitcnt lgkmcnt(9)
	v_add_co_u32 v20, vcc_lo, 0x3000, v2
	v_add_co_ci_u32_e32 v21, vcc_lo, 0, v3, vcc_lo
	s_waitcnt lgkmcnt(8)
	global_store_b64 v[20:21], v[18:19], off offset:2048
	s_or_b32 exec_lo, exec_lo, s1
	s_and_saveexec_b32 s1, s9
	s_cbranch_execz .LBB23_53
.LBB23_69:
	s_waitcnt lgkmcnt(8)
	v_add_co_u32 v18, vcc_lo, 0x4000, v2
	v_add_co_ci_u32_e32 v19, vcc_lo, 0, v3, vcc_lo
	s_waitcnt lgkmcnt(7)
	global_store_b64 v[18:19], v[16:17], off
	s_or_b32 exec_lo, exec_lo, s1
	s_and_saveexec_b32 s1, s10
	s_cbranch_execz .LBB23_54
.LBB23_70:
	s_waitcnt lgkmcnt(7)
	v_add_co_u32 v16, vcc_lo, 0x4000, v2
	v_add_co_ci_u32_e32 v17, vcc_lo, 0, v3, vcc_lo
	s_waitcnt lgkmcnt(6)
	global_store_b64 v[16:17], v[14:15], off offset:2048
	s_or_b32 exec_lo, exec_lo, s1
	s_and_saveexec_b32 s1, s11
	s_cbranch_execz .LBB23_55
.LBB23_71:
	s_waitcnt lgkmcnt(6)
	v_add_co_u32 v14, vcc_lo, 0x5000, v2
	v_add_co_ci_u32_e32 v15, vcc_lo, 0, v3, vcc_lo
	s_waitcnt lgkmcnt(5)
	global_store_b64 v[14:15], v[12:13], off
	s_or_b32 exec_lo, exec_lo, s1
	s_and_saveexec_b32 s1, s12
	s_cbranch_execz .LBB23_56
.LBB23_72:
	s_waitcnt lgkmcnt(5)
	v_add_co_u32 v12, vcc_lo, 0x5000, v2
	v_add_co_ci_u32_e32 v13, vcc_lo, 0, v3, vcc_lo
	s_waitcnt lgkmcnt(4)
	global_store_b64 v[12:13], v[10:11], off offset:2048
	s_or_b32 exec_lo, exec_lo, s1
	s_and_saveexec_b32 s1, s13
	s_cbranch_execz .LBB23_57
.LBB23_73:
	s_waitcnt lgkmcnt(4)
	v_add_co_u32 v10, vcc_lo, 0x6000, v2
	v_add_co_ci_u32_e32 v11, vcc_lo, 0, v3, vcc_lo
	s_waitcnt lgkmcnt(3)
	global_store_b64 v[10:11], v[8:9], off
	s_or_b32 exec_lo, exec_lo, s1
	s_and_saveexec_b32 s1, s14
	s_cbranch_execz .LBB23_58
.LBB23_74:
	s_waitcnt lgkmcnt(3)
	v_add_co_u32 v8, vcc_lo, 0x6000, v2
	v_add_co_ci_u32_e32 v9, vcc_lo, 0, v3, vcc_lo
	s_waitcnt lgkmcnt(2)
	global_store_b64 v[8:9], v[6:7], off offset:2048
	s_or_b32 exec_lo, exec_lo, s1
	s_and_saveexec_b32 s1, s15
	s_cbranch_execz .LBB23_59
.LBB23_75:
	s_waitcnt lgkmcnt(2)
	v_add_co_u32 v6, vcc_lo, 0x7000, v2
	v_add_co_ci_u32_e32 v7, vcc_lo, 0, v3, vcc_lo
	s_waitcnt lgkmcnt(1)
	global_store_b64 v[6:7], v[4:5], off
	s_or_b32 exec_lo, exec_lo, s1
	s_and_saveexec_b32 s1, s0
	s_cbranch_execz .LBB23_60
.LBB23_76:
	v_add_co_u32 v2, vcc_lo, 0x7000, v2
	v_add_co_ci_u32_e32 v3, vcc_lo, 0, v3, vcc_lo
	s_waitcnt lgkmcnt(0)
	global_store_b64 v[2:3], v[0:1], off offset:2048
	s_nop 0
	s_sendmsg sendmsg(MSG_DEALLOC_VGPRS)
	s_endpgm
	.section	.rodata,"a",@progbits
	.p2align	6, 0x0
	.amdhsa_kernel _ZN7rocprim17ROCPRIM_304000_NS6detail18single_scan_kernelILb1ENS1_19wrapped_scan_configINS0_14default_configElEEN6hipcub22TransformInputIteratorIbN2at4cuda3cub12_GLOBAL__N_111CountMaskOpEPKhlEEPlNSB_5SumOpIlEEllEEvT1_mT4_T2_T3_
		.amdhsa_group_segment_fixed_size 33792
		.amdhsa_private_segment_fixed_size 0
		.amdhsa_kernarg_size 44
		.amdhsa_user_sgpr_count 15
		.amdhsa_user_sgpr_dispatch_ptr 0
		.amdhsa_user_sgpr_queue_ptr 0
		.amdhsa_user_sgpr_kernarg_segment_ptr 1
		.amdhsa_user_sgpr_dispatch_id 0
		.amdhsa_user_sgpr_private_segment_size 0
		.amdhsa_wavefront_size32 1
		.amdhsa_uses_dynamic_stack 0
		.amdhsa_enable_private_segment 0
		.amdhsa_system_sgpr_workgroup_id_x 1
		.amdhsa_system_sgpr_workgroup_id_y 0
		.amdhsa_system_sgpr_workgroup_id_z 0
		.amdhsa_system_sgpr_workgroup_info 0
		.amdhsa_system_vgpr_workitem_id 0
		.amdhsa_next_free_vgpr 77
		.amdhsa_next_free_sgpr 24
		.amdhsa_reserve_vcc 1
		.amdhsa_float_round_mode_32 0
		.amdhsa_float_round_mode_16_64 0
		.amdhsa_float_denorm_mode_32 3
		.amdhsa_float_denorm_mode_16_64 3
		.amdhsa_dx10_clamp 1
		.amdhsa_ieee_mode 1
		.amdhsa_fp16_overflow 0
		.amdhsa_workgroup_processor_mode 1
		.amdhsa_memory_ordered 1
		.amdhsa_forward_progress 0
		.amdhsa_shared_vgpr_count 0
		.amdhsa_exception_fp_ieee_invalid_op 0
		.amdhsa_exception_fp_denorm_src 0
		.amdhsa_exception_fp_ieee_div_zero 0
		.amdhsa_exception_fp_ieee_overflow 0
		.amdhsa_exception_fp_ieee_underflow 0
		.amdhsa_exception_fp_ieee_inexact 0
		.amdhsa_exception_int_div_zero 0
	.end_amdhsa_kernel
	.section	.text._ZN7rocprim17ROCPRIM_304000_NS6detail18single_scan_kernelILb1ENS1_19wrapped_scan_configINS0_14default_configElEEN6hipcub22TransformInputIteratorIbN2at4cuda3cub12_GLOBAL__N_111CountMaskOpEPKhlEEPlNSB_5SumOpIlEEllEEvT1_mT4_T2_T3_,"axG",@progbits,_ZN7rocprim17ROCPRIM_304000_NS6detail18single_scan_kernelILb1ENS1_19wrapped_scan_configINS0_14default_configElEEN6hipcub22TransformInputIteratorIbN2at4cuda3cub12_GLOBAL__N_111CountMaskOpEPKhlEEPlNSB_5SumOpIlEEllEEvT1_mT4_T2_T3_,comdat
.Lfunc_end23:
	.size	_ZN7rocprim17ROCPRIM_304000_NS6detail18single_scan_kernelILb1ENS1_19wrapped_scan_configINS0_14default_configElEEN6hipcub22TransformInputIteratorIbN2at4cuda3cub12_GLOBAL__N_111CountMaskOpEPKhlEEPlNSB_5SumOpIlEEllEEvT1_mT4_T2_T3_, .Lfunc_end23-_ZN7rocprim17ROCPRIM_304000_NS6detail18single_scan_kernelILb1ENS1_19wrapped_scan_configINS0_14default_configElEEN6hipcub22TransformInputIteratorIbN2at4cuda3cub12_GLOBAL__N_111CountMaskOpEPKhlEEPlNSB_5SumOpIlEEllEEvT1_mT4_T2_T3_
                                        ; -- End function
	.section	.AMDGPU.csdata,"",@progbits
; Kernel info:
; codeLenInByte = 4548
; NumSgprs: 26
; NumVgprs: 77
; ScratchSize: 0
; MemoryBound: 0
; FloatMode: 240
; IeeeMode: 1
; LDSByteSize: 33792 bytes/workgroup (compile time only)
; SGPRBlocks: 3
; VGPRBlocks: 9
; NumSGPRsForWavesPerEU: 26
; NumVGPRsForWavesPerEU: 77
; Occupancy: 6
; WaveLimiterHint : 0
; COMPUTE_PGM_RSRC2:SCRATCH_EN: 0
; COMPUTE_PGM_RSRC2:USER_SGPR: 15
; COMPUTE_PGM_RSRC2:TRAP_HANDLER: 0
; COMPUTE_PGM_RSRC2:TGID_X_EN: 1
; COMPUTE_PGM_RSRC2:TGID_Y_EN: 0
; COMPUTE_PGM_RSRC2:TGID_Z_EN: 0
; COMPUTE_PGM_RSRC2:TIDIG_COMP_CNT: 0
	.text
	.p2alignl 7, 3214868480
	.fill 96, 4, 3214868480
	.type	__hip_cuid_5e7a32b0b51dd5a6,@object ; @__hip_cuid_5e7a32b0b51dd5a6
	.section	.bss,"aw",@nobits
	.globl	__hip_cuid_5e7a32b0b51dd5a6
__hip_cuid_5e7a32b0b51dd5a6:
	.byte	0                               ; 0x0
	.size	__hip_cuid_5e7a32b0b51dd5a6, 1

	.ident	"AMD clang version 19.0.0git (https://github.com/RadeonOpenCompute/llvm-project roc-6.4.0 25133 c7fe45cf4b819c5991fe208aaa96edf142730f1d)"
	.section	".note.GNU-stack","",@progbits
	.addrsig
	.addrsig_sym __hip_cuid_5e7a32b0b51dd5a6
	.amdgpu_metadata
---
amdhsa.kernels:
  - .args:
      - .address_space:  global
        .offset:         0
        .size:           8
        .value_kind:     global_buffer
      - .offset:         8
        .size:           4
        .value_kind:     by_value
      - .offset:         12
        .size:           4
        .value_kind:     by_value
      - .address_space:  global
        .offset:         16
        .size:           8
        .value_kind:     global_buffer
      - .offset:         24
        .size:           4
        .value_kind:     hidden_block_count_x
      - .offset:         28
        .size:           4
        .value_kind:     hidden_block_count_y
      - .offset:         32
        .size:           4
        .value_kind:     hidden_block_count_z
      - .offset:         36
        .size:           2
        .value_kind:     hidden_group_size_x
      - .offset:         38
        .size:           2
        .value_kind:     hidden_group_size_y
      - .offset:         40
        .size:           2
        .value_kind:     hidden_group_size_z
      - .offset:         42
        .size:           2
        .value_kind:     hidden_remainder_x
      - .offset:         44
        .size:           2
        .value_kind:     hidden_remainder_y
      - .offset:         46
        .size:           2
        .value_kind:     hidden_remainder_z
      - .offset:         64
        .size:           8
        .value_kind:     hidden_global_offset_x
      - .offset:         72
        .size:           8
        .value_kind:     hidden_global_offset_y
      - .offset:         80
        .size:           8
        .value_kind:     hidden_global_offset_z
      - .offset:         88
        .size:           2
        .value_kind:     hidden_grid_dims
    .group_segment_fixed_size: 0
    .kernarg_segment_align: 8
    .kernarg_segment_size: 280
    .language:       OpenCL C
    .language_version:
      - 2
      - 0
    .max_flat_workgroup_size: 256
    .name:           _ZN7rocprim17ROCPRIM_304000_NS6detail31init_lookback_scan_state_kernelINS1_19lookback_scan_stateIiLb1ELb1EEEEEvT_jjPNS5_10value_typeE
    .private_segment_fixed_size: 0
    .sgpr_count:     18
    .sgpr_spill_count: 0
    .symbol:         _ZN7rocprim17ROCPRIM_304000_NS6detail31init_lookback_scan_state_kernelINS1_19lookback_scan_stateIiLb1ELb1EEEEEvT_jjPNS5_10value_typeE.kd
    .uniform_work_group_size: 1
    .uses_dynamic_stack: false
    .vgpr_count:     6
    .vgpr_spill_count: 0
    .wavefront_size: 32
    .workgroup_processor_mode: 1
  - .args:
      - .address_space:  global
        .offset:         0
        .size:           8
        .value_kind:     global_buffer
      - .offset:         8
        .size:           4
        .value_kind:     by_value
      - .offset:         12
        .size:           4
        .value_kind:     by_value
      - .address_space:  global
        .offset:         16
        .size:           8
        .value_kind:     global_buffer
      - .offset:         24
        .size:           4
        .value_kind:     hidden_block_count_x
      - .offset:         28
        .size:           4
        .value_kind:     hidden_block_count_y
      - .offset:         32
        .size:           4
        .value_kind:     hidden_block_count_z
      - .offset:         36
        .size:           2
        .value_kind:     hidden_group_size_x
      - .offset:         38
        .size:           2
        .value_kind:     hidden_group_size_y
      - .offset:         40
        .size:           2
        .value_kind:     hidden_group_size_z
      - .offset:         42
        .size:           2
        .value_kind:     hidden_remainder_x
      - .offset:         44
        .size:           2
        .value_kind:     hidden_remainder_y
      - .offset:         46
        .size:           2
        .value_kind:     hidden_remainder_z
      - .offset:         64
        .size:           8
        .value_kind:     hidden_global_offset_x
      - .offset:         72
        .size:           8
        .value_kind:     hidden_global_offset_y
      - .offset:         80
        .size:           8
        .value_kind:     hidden_global_offset_z
      - .offset:         88
        .size:           2
        .value_kind:     hidden_grid_dims
    .group_segment_fixed_size: 0
    .kernarg_segment_align: 8
    .kernarg_segment_size: 280
    .language:       OpenCL C
    .language_version:
      - 2
      - 0
    .max_flat_workgroup_size: 256
    .name:           _ZN7rocprim17ROCPRIM_304000_NS6detail31init_lookback_scan_state_kernelINS1_19lookback_scan_stateIiLb0ELb1EEEEEvT_jjPNS5_10value_typeE
    .private_segment_fixed_size: 0
    .sgpr_count:     18
    .sgpr_spill_count: 0
    .symbol:         _ZN7rocprim17ROCPRIM_304000_NS6detail31init_lookback_scan_state_kernelINS1_19lookback_scan_stateIiLb0ELb1EEEEEvT_jjPNS5_10value_typeE.kd
    .uniform_work_group_size: 1
    .uses_dynamic_stack: false
    .vgpr_count:     6
    .vgpr_spill_count: 0
    .wavefront_size: 32
    .workgroup_processor_mode: 1
  - .args:
      - .address_space:  global
        .offset:         0
        .size:           8
        .value_kind:     global_buffer
      - .address_space:  global
        .offset:         8
        .size:           8
        .value_kind:     global_buffer
      - .offset:         16
        .size:           8
        .value_kind:     by_value
      - .offset:         24
        .size:           4
        .value_kind:     by_value
      - .offset:         28
        .size:           1
        .value_kind:     by_value
      - .address_space:  global
        .offset:         32
        .size:           8
        .value_kind:     global_buffer
      - .offset:         40
        .size:           4
        .value_kind:     by_value
      - .address_space:  global
        .offset:         48
        .size:           8
        .value_kind:     global_buffer
      - .address_space:  global
        .offset:         56
        .size:           8
        .value_kind:     global_buffer
      - .offset:         64
        .size:           1
        .value_kind:     by_value
      - .offset:         65
        .size:           1
        .value_kind:     by_value
    .group_segment_fixed_size: 0
    .kernarg_segment_align: 8
    .kernarg_segment_size: 68
    .language:       OpenCL C
    .language_version:
      - 2
      - 0
    .max_flat_workgroup_size: 64
    .name:           _ZN7rocprim17ROCPRIM_304000_NS6detail20lookback_scan_kernelILNS1_25lookback_scan_determinismE0ELb0ENS1_19wrapped_scan_configINS0_14default_configEiEEPKiPiSt4plusIvEiiNS1_19lookback_scan_stateIiLb1ELb1EEEEEvT2_T3_mT5_T4_T7_jPT6_SK_bb
    .private_segment_fixed_size: 0
    .sgpr_count:     0
    .sgpr_spill_count: 0
    .symbol:         _ZN7rocprim17ROCPRIM_304000_NS6detail20lookback_scan_kernelILNS1_25lookback_scan_determinismE0ELb0ENS1_19wrapped_scan_configINS0_14default_configEiEEPKiPiSt4plusIvEiiNS1_19lookback_scan_stateIiLb1ELb1EEEEEvT2_T3_mT5_T4_T7_jPT6_SK_bb.kd
    .uniform_work_group_size: 1
    .uses_dynamic_stack: false
    .vgpr_count:     0
    .vgpr_spill_count: 0
    .wavefront_size: 32
    .workgroup_processor_mode: 1
  - .args:
      - .address_space:  global
        .offset:         0
        .size:           8
        .value_kind:     global_buffer
      - .address_space:  global
        .offset:         8
        .size:           8
        .value_kind:     global_buffer
      - .offset:         16
        .size:           8
        .value_kind:     by_value
      - .offset:         24
        .size:           4
        .value_kind:     by_value
      - .offset:         28
        .size:           1
        .value_kind:     by_value
      - .address_space:  global
        .offset:         32
        .size:           8
        .value_kind:     global_buffer
      - .offset:         40
        .size:           4
        .value_kind:     by_value
      - .address_space:  global
        .offset:         48
        .size:           8
        .value_kind:     global_buffer
      - .address_space:  global
        .offset:         56
        .size:           8
        .value_kind:     global_buffer
      - .offset:         64
        .size:           1
        .value_kind:     by_value
      - .offset:         65
        .size:           1
        .value_kind:     by_value
    .group_segment_fixed_size: 4224
    .kernarg_segment_align: 8
    .kernarg_segment_size: 68
    .language:       OpenCL C
    .language_version:
      - 2
      - 0
    .max_flat_workgroup_size: 64
    .name:           _ZN7rocprim17ROCPRIM_304000_NS6detail20lookback_scan_kernelILNS1_25lookback_scan_determinismE0ELb0ENS1_19wrapped_scan_configINS0_14default_configEiEEPKiPiSt4plusIvEiiNS1_19lookback_scan_stateIiLb0ELb1EEEEEvT2_T3_mT5_T4_T7_jPT6_SK_bb
    .private_segment_fixed_size: 0
    .sgpr_count:     37
    .sgpr_spill_count: 0
    .symbol:         _ZN7rocprim17ROCPRIM_304000_NS6detail20lookback_scan_kernelILNS1_25lookback_scan_determinismE0ELb0ENS1_19wrapped_scan_configINS0_14default_configEiEEPKiPiSt4plusIvEiiNS1_19lookback_scan_stateIiLb0ELb1EEEEEvT2_T3_mT5_T4_T7_jPT6_SK_bb.kd
    .uniform_work_group_size: 1
    .uses_dynamic_stack: false
    .vgpr_count:     56
    .vgpr_spill_count: 0
    .wavefront_size: 32
    .workgroup_processor_mode: 1
  - .args:
      - .address_space:  global
        .offset:         0
        .size:           8
        .value_kind:     global_buffer
      - .offset:         8
        .size:           8
        .value_kind:     by_value
      - .address_space:  global
        .offset:         16
        .size:           8
        .value_kind:     global_buffer
      - .offset:         24
        .size:           1
        .value_kind:     by_value
      - .offset:         32
        .size:           4
        .value_kind:     hidden_block_count_x
      - .offset:         36
        .size:           4
        .value_kind:     hidden_block_count_y
      - .offset:         40
        .size:           4
        .value_kind:     hidden_block_count_z
      - .offset:         44
        .size:           2
        .value_kind:     hidden_group_size_x
      - .offset:         46
        .size:           2
        .value_kind:     hidden_group_size_y
      - .offset:         48
        .size:           2
        .value_kind:     hidden_group_size_z
      - .offset:         50
        .size:           2
        .value_kind:     hidden_remainder_x
      - .offset:         52
        .size:           2
        .value_kind:     hidden_remainder_y
      - .offset:         54
        .size:           2
        .value_kind:     hidden_remainder_z
      - .offset:         72
        .size:           8
        .value_kind:     hidden_global_offset_x
      - .offset:         80
        .size:           8
        .value_kind:     hidden_global_offset_y
      - .offset:         88
        .size:           8
        .value_kind:     hidden_global_offset_z
      - .offset:         96
        .size:           2
        .value_kind:     hidden_grid_dims
    .group_segment_fixed_size: 0
    .kernarg_segment_align: 8
    .kernarg_segment_size: 288
    .language:       OpenCL C
    .language_version:
      - 2
      - 0
    .max_flat_workgroup_size: 256
    .name:           _ZN7rocprim17ROCPRIM_304000_NS6detail16transform_kernelINS1_24wrapped_transform_configINS0_14default_configEiEEiPiS6_NS0_8identityIiEEEEvT1_mT2_T3_
    .private_segment_fixed_size: 0
    .sgpr_count:     24
    .sgpr_spill_count: 0
    .symbol:         _ZN7rocprim17ROCPRIM_304000_NS6detail16transform_kernelINS1_24wrapped_transform_configINS0_14default_configEiEEiPiS6_NS0_8identityIiEEEEvT1_mT2_T3_.kd
    .uniform_work_group_size: 1
    .uses_dynamic_stack: false
    .vgpr_count:     28
    .vgpr_spill_count: 0
    .wavefront_size: 32
    .workgroup_processor_mode: 1
  - .args:
      - .address_space:  global
        .offset:         0
        .size:           8
        .value_kind:     global_buffer
      - .offset:         8
        .size:           8
        .value_kind:     by_value
      - .offset:         16
        .size:           4
        .value_kind:     by_value
      - .address_space:  global
        .offset:         24
        .size:           8
        .value_kind:     global_buffer
      - .offset:         32
        .size:           1
        .value_kind:     by_value
    .group_segment_fixed_size: 4224
    .kernarg_segment_align: 8
    .kernarg_segment_size: 36
    .language:       OpenCL C
    .language_version:
      - 2
      - 0
    .max_flat_workgroup_size: 64
    .name:           _ZN7rocprim17ROCPRIM_304000_NS6detail18single_scan_kernelILb0ENS1_19wrapped_scan_configINS0_14default_configEiEEPKiPiSt4plusIvEiiEEvT1_mT4_T2_T3_
    .private_segment_fixed_size: 0
    .sgpr_count:     26
    .sgpr_spill_count: 0
    .symbol:         _ZN7rocprim17ROCPRIM_304000_NS6detail18single_scan_kernelILb0ENS1_19wrapped_scan_configINS0_14default_configEiEEPKiPiSt4plusIvEiiEEvT1_mT4_T2_T3_.kd
    .uniform_work_group_size: 1
    .uses_dynamic_stack: false
    .vgpr_count:     44
    .vgpr_spill_count: 0
    .wavefront_size: 32
    .workgroup_processor_mode: 1
  - .args:
      - .address_space:  global
        .offset:         0
        .size:           8
        .value_kind:     global_buffer
      - .offset:         8
        .size:           4
        .value_kind:     by_value
      - .offset:         12
        .size:           4
        .value_kind:     by_value
      - .address_space:  global
        .offset:         16
        .size:           8
        .value_kind:     global_buffer
      - .offset:         24
        .size:           4
        .value_kind:     hidden_block_count_x
      - .offset:         28
        .size:           4
        .value_kind:     hidden_block_count_y
      - .offset:         32
        .size:           4
        .value_kind:     hidden_block_count_z
      - .offset:         36
        .size:           2
        .value_kind:     hidden_group_size_x
      - .offset:         38
        .size:           2
        .value_kind:     hidden_group_size_y
      - .offset:         40
        .size:           2
        .value_kind:     hidden_group_size_z
      - .offset:         42
        .size:           2
        .value_kind:     hidden_remainder_x
      - .offset:         44
        .size:           2
        .value_kind:     hidden_remainder_y
      - .offset:         46
        .size:           2
        .value_kind:     hidden_remainder_z
      - .offset:         64
        .size:           8
        .value_kind:     hidden_global_offset_x
      - .offset:         72
        .size:           8
        .value_kind:     hidden_global_offset_y
      - .offset:         80
        .size:           8
        .value_kind:     hidden_global_offset_z
      - .offset:         88
        .size:           2
        .value_kind:     hidden_grid_dims
    .group_segment_fixed_size: 0
    .kernarg_segment_align: 8
    .kernarg_segment_size: 280
    .language:       OpenCL C
    .language_version:
      - 2
      - 0
    .max_flat_workgroup_size: 256
    .name:           _ZN7rocprim17ROCPRIM_304000_NS6detail31init_lookback_scan_state_kernelINS1_19lookback_scan_stateIlLb1ELb1EEEEEvT_jjPNS5_10value_typeE
    .private_segment_fixed_size: 0
    .sgpr_count:     18
    .sgpr_spill_count: 0
    .symbol:         _ZN7rocprim17ROCPRIM_304000_NS6detail31init_lookback_scan_state_kernelINS1_19lookback_scan_stateIlLb1ELb1EEEEEvT_jjPNS5_10value_typeE.kd
    .uniform_work_group_size: 1
    .uses_dynamic_stack: false
    .vgpr_count:     9
    .vgpr_spill_count: 0
    .wavefront_size: 32
    .workgroup_processor_mode: 1
  - .args:
      - .address_space:  global
        .offset:         0
        .size:           8
        .value_kind:     global_buffer
      - .offset:         8
        .size:           4
        .value_kind:     by_value
      - .offset:         12
        .size:           4
        .value_kind:     by_value
      - .address_space:  global
        .offset:         16
        .size:           8
        .value_kind:     global_buffer
      - .offset:         24
        .size:           4
        .value_kind:     hidden_block_count_x
      - .offset:         28
        .size:           4
        .value_kind:     hidden_block_count_y
      - .offset:         32
        .size:           4
        .value_kind:     hidden_block_count_z
      - .offset:         36
        .size:           2
        .value_kind:     hidden_group_size_x
      - .offset:         38
        .size:           2
        .value_kind:     hidden_group_size_y
      - .offset:         40
        .size:           2
        .value_kind:     hidden_group_size_z
      - .offset:         42
        .size:           2
        .value_kind:     hidden_remainder_x
      - .offset:         44
        .size:           2
        .value_kind:     hidden_remainder_y
      - .offset:         46
        .size:           2
        .value_kind:     hidden_remainder_z
      - .offset:         64
        .size:           8
        .value_kind:     hidden_global_offset_x
      - .offset:         72
        .size:           8
        .value_kind:     hidden_global_offset_y
      - .offset:         80
        .size:           8
        .value_kind:     hidden_global_offset_z
      - .offset:         88
        .size:           2
        .value_kind:     hidden_grid_dims
    .group_segment_fixed_size: 0
    .kernarg_segment_align: 8
    .kernarg_segment_size: 280
    .language:       OpenCL C
    .language_version:
      - 2
      - 0
    .max_flat_workgroup_size: 256
    .name:           _ZN7rocprim17ROCPRIM_304000_NS6detail31init_lookback_scan_state_kernelINS1_19lookback_scan_stateIlLb0ELb1EEEEEvT_jjPNS5_10value_typeE
    .private_segment_fixed_size: 0
    .sgpr_count:     18
    .sgpr_spill_count: 0
    .symbol:         _ZN7rocprim17ROCPRIM_304000_NS6detail31init_lookback_scan_state_kernelINS1_19lookback_scan_stateIlLb0ELb1EEEEEvT_jjPNS5_10value_typeE.kd
    .uniform_work_group_size: 1
    .uses_dynamic_stack: false
    .vgpr_count:     9
    .vgpr_spill_count: 0
    .wavefront_size: 32
    .workgroup_processor_mode: 1
  - .args:
      - .address_space:  global
        .offset:         0
        .size:           8
        .value_kind:     global_buffer
      - .address_space:  global
        .offset:         8
        .size:           8
        .value_kind:     global_buffer
      - .offset:         16
        .size:           8
        .value_kind:     by_value
      - .offset:         24
        .size:           8
        .value_kind:     by_value
      - .offset:         32
        .size:           1
        .value_kind:     by_value
      - .address_space:  global
        .offset:         40
        .size:           8
        .value_kind:     global_buffer
      - .offset:         48
        .size:           4
        .value_kind:     by_value
      - .address_space:  global
        .offset:         56
        .size:           8
        .value_kind:     global_buffer
      - .address_space:  global
        .offset:         64
        .size:           8
        .value_kind:     global_buffer
      - .offset:         72
        .size:           1
        .value_kind:     by_value
      - .offset:         73
        .size:           1
        .value_kind:     by_value
    .group_segment_fixed_size: 0
    .kernarg_segment_align: 8
    .kernarg_segment_size: 76
    .language:       OpenCL C
    .language_version:
      - 2
      - 0
    .max_flat_workgroup_size: 256
    .name:           _ZN7rocprim17ROCPRIM_304000_NS6detail20lookback_scan_kernelILNS1_25lookback_scan_determinismE0ELb0ENS1_19wrapped_scan_configINS0_14default_configElEEPKlPlSt4plusIvEllNS1_19lookback_scan_stateIlLb1ELb1EEEEEvT2_T3_mT5_T4_T7_jPT6_SK_bb
    .private_segment_fixed_size: 0
    .sgpr_count:     0
    .sgpr_spill_count: 0
    .symbol:         _ZN7rocprim17ROCPRIM_304000_NS6detail20lookback_scan_kernelILNS1_25lookback_scan_determinismE0ELb0ENS1_19wrapped_scan_configINS0_14default_configElEEPKlPlSt4plusIvEllNS1_19lookback_scan_stateIlLb1ELb1EEEEEvT2_T3_mT5_T4_T7_jPT6_SK_bb.kd
    .uniform_work_group_size: 1
    .uses_dynamic_stack: false
    .vgpr_count:     0
    .vgpr_spill_count: 0
    .wavefront_size: 32
    .workgroup_processor_mode: 1
  - .args:
      - .address_space:  global
        .offset:         0
        .size:           8
        .value_kind:     global_buffer
      - .address_space:  global
        .offset:         8
        .size:           8
        .value_kind:     global_buffer
      - .offset:         16
        .size:           8
        .value_kind:     by_value
      - .offset:         24
        .size:           8
        .value_kind:     by_value
      - .offset:         32
        .size:           1
        .value_kind:     by_value
      - .address_space:  global
        .offset:         40
        .size:           8
        .value_kind:     global_buffer
      - .offset:         48
        .size:           4
        .value_kind:     by_value
      - .address_space:  global
        .offset:         56
        .size:           8
        .value_kind:     global_buffer
      - .address_space:  global
        .offset:         64
        .size:           8
        .value_kind:     global_buffer
      - .offset:         72
        .size:           1
        .value_kind:     by_value
      - .offset:         73
        .size:           1
        .value_kind:     by_value
    .group_segment_fixed_size: 33792
    .kernarg_segment_align: 8
    .kernarg_segment_size: 76
    .language:       OpenCL C
    .language_version:
      - 2
      - 0
    .max_flat_workgroup_size: 256
    .name:           _ZN7rocprim17ROCPRIM_304000_NS6detail20lookback_scan_kernelILNS1_25lookback_scan_determinismE0ELb0ENS1_19wrapped_scan_configINS0_14default_configElEEPKlPlSt4plusIvEllNS1_19lookback_scan_stateIlLb0ELb1EEEEEvT2_T3_mT5_T4_T7_jPT6_SK_bb
    .private_segment_fixed_size: 0
    .sgpr_count:     70
    .sgpr_spill_count: 0
    .symbol:         _ZN7rocprim17ROCPRIM_304000_NS6detail20lookback_scan_kernelILNS1_25lookback_scan_determinismE0ELb0ENS1_19wrapped_scan_configINS0_14default_configElEEPKlPlSt4plusIvEllNS1_19lookback_scan_stateIlLb0ELb1EEEEEvT2_T3_mT5_T4_T7_jPT6_SK_bb.kd
    .uniform_work_group_size: 1
    .uses_dynamic_stack: false
    .vgpr_count:     96
    .vgpr_spill_count: 0
    .wavefront_size: 32
    .workgroup_processor_mode: 1
  - .args:
      - .address_space:  global
        .offset:         0
        .size:           8
        .value_kind:     global_buffer
      - .offset:         8
        .size:           8
        .value_kind:     by_value
      - .address_space:  global
        .offset:         16
        .size:           8
        .value_kind:     global_buffer
      - .offset:         24
        .size:           1
        .value_kind:     by_value
      - .offset:         32
        .size:           4
        .value_kind:     hidden_block_count_x
      - .offset:         36
        .size:           4
        .value_kind:     hidden_block_count_y
      - .offset:         40
        .size:           4
        .value_kind:     hidden_block_count_z
      - .offset:         44
        .size:           2
        .value_kind:     hidden_group_size_x
      - .offset:         46
        .size:           2
        .value_kind:     hidden_group_size_y
      - .offset:         48
        .size:           2
        .value_kind:     hidden_group_size_z
      - .offset:         50
        .size:           2
        .value_kind:     hidden_remainder_x
      - .offset:         52
        .size:           2
        .value_kind:     hidden_remainder_y
      - .offset:         54
        .size:           2
        .value_kind:     hidden_remainder_z
      - .offset:         72
        .size:           8
        .value_kind:     hidden_global_offset_x
      - .offset:         80
        .size:           8
        .value_kind:     hidden_global_offset_y
      - .offset:         88
        .size:           8
        .value_kind:     hidden_global_offset_z
      - .offset:         96
        .size:           2
        .value_kind:     hidden_grid_dims
    .group_segment_fixed_size: 0
    .kernarg_segment_align: 8
    .kernarg_segment_size: 288
    .language:       OpenCL C
    .language_version:
      - 2
      - 0
    .max_flat_workgroup_size: 512
    .name:           _ZN7rocprim17ROCPRIM_304000_NS6detail16transform_kernelINS1_24wrapped_transform_configINS0_14default_configElEElPlS6_NS0_8identityIlEEEEvT1_mT2_T3_
    .private_segment_fixed_size: 0
    .sgpr_count:     18
    .sgpr_spill_count: 0
    .symbol:         _ZN7rocprim17ROCPRIM_304000_NS6detail16transform_kernelINS1_24wrapped_transform_configINS0_14default_configElEElPlS6_NS0_8identityIlEEEEvT1_mT2_T3_.kd
    .uniform_work_group_size: 1
    .uses_dynamic_stack: false
    .vgpr_count:     5
    .vgpr_spill_count: 0
    .wavefront_size: 32
    .workgroup_processor_mode: 1
  - .args:
      - .address_space:  global
        .offset:         0
        .size:           8
        .value_kind:     global_buffer
      - .offset:         8
        .size:           8
        .value_kind:     by_value
      - .offset:         16
        .size:           8
        .value_kind:     by_value
      - .address_space:  global
        .offset:         24
        .size:           8
        .value_kind:     global_buffer
      - .offset:         32
        .size:           1
        .value_kind:     by_value
    .group_segment_fixed_size: 33792
    .kernarg_segment_align: 8
    .kernarg_segment_size: 36
    .language:       OpenCL C
    .language_version:
      - 2
      - 0
    .max_flat_workgroup_size: 256
    .name:           _ZN7rocprim17ROCPRIM_304000_NS6detail18single_scan_kernelILb0ENS1_19wrapped_scan_configINS0_14default_configElEEPKlPlSt4plusIvEllEEvT1_mT4_T2_T3_
    .private_segment_fixed_size: 0
    .sgpr_count:     70
    .sgpr_spill_count: 0
    .symbol:         _ZN7rocprim17ROCPRIM_304000_NS6detail18single_scan_kernelILb0ENS1_19wrapped_scan_configINS0_14default_configElEEPKlPlSt4plusIvEllEEvT1_mT4_T2_T3_.kd
    .uniform_work_group_size: 1
    .uses_dynamic_stack: false
    .vgpr_count:     79
    .vgpr_spill_count: 0
    .wavefront_size: 32
    .workgroup_processor_mode: 1
  - .args:
      - .address_space:  global
        .offset:         0
        .size:           8
        .value_kind:     global_buffer
      - .address_space:  global
        .offset:         8
        .size:           8
        .value_kind:     global_buffer
      - .offset:         16
        .size:           8
        .value_kind:     by_value
      - .offset:         24
        .size:           4
        .value_kind:     by_value
      - .offset:         28
        .size:           1
        .value_kind:     by_value
      - .address_space:  global
        .offset:         32
        .size:           8
        .value_kind:     global_buffer
      - .offset:         40
        .size:           4
        .value_kind:     by_value
      - .address_space:  global
        .offset:         48
        .size:           8
        .value_kind:     global_buffer
      - .address_space:  global
        .offset:         56
        .size:           8
        .value_kind:     global_buffer
      - .offset:         64
        .size:           1
        .value_kind:     by_value
      - .offset:         65
        .size:           1
        .value_kind:     by_value
    .group_segment_fixed_size: 0
    .kernarg_segment_align: 8
    .kernarg_segment_size: 68
    .language:       OpenCL C
    .language_version:
      - 2
      - 0
    .max_flat_workgroup_size: 64
    .name:           _ZN7rocprim17ROCPRIM_304000_NS6detail20lookback_scan_kernelILNS1_25lookback_scan_determinismE0ELb0ENS1_19wrapped_scan_configINS0_14default_configEiEEPKiPlSt4plusIvEiiNS1_19lookback_scan_stateIiLb1ELb1EEEEEvT2_T3_mT5_T4_T7_jPT6_SK_bb
    .private_segment_fixed_size: 0
    .sgpr_count:     0
    .sgpr_spill_count: 0
    .symbol:         _ZN7rocprim17ROCPRIM_304000_NS6detail20lookback_scan_kernelILNS1_25lookback_scan_determinismE0ELb0ENS1_19wrapped_scan_configINS0_14default_configEiEEPKiPlSt4plusIvEiiNS1_19lookback_scan_stateIiLb1ELb1EEEEEvT2_T3_mT5_T4_T7_jPT6_SK_bb.kd
    .uniform_work_group_size: 1
    .uses_dynamic_stack: false
    .vgpr_count:     0
    .vgpr_spill_count: 0
    .wavefront_size: 32
    .workgroup_processor_mode: 1
  - .args:
      - .address_space:  global
        .offset:         0
        .size:           8
        .value_kind:     global_buffer
      - .address_space:  global
        .offset:         8
        .size:           8
        .value_kind:     global_buffer
      - .offset:         16
        .size:           8
        .value_kind:     by_value
      - .offset:         24
        .size:           4
        .value_kind:     by_value
      - .offset:         28
        .size:           1
        .value_kind:     by_value
      - .address_space:  global
        .offset:         32
        .size:           8
        .value_kind:     global_buffer
      - .offset:         40
        .size:           4
        .value_kind:     by_value
      - .address_space:  global
        .offset:         48
        .size:           8
        .value_kind:     global_buffer
      - .address_space:  global
        .offset:         56
        .size:           8
        .value_kind:     global_buffer
      - .offset:         64
        .size:           1
        .value_kind:     by_value
      - .offset:         65
        .size:           1
        .value_kind:     by_value
    .group_segment_fixed_size: 4224
    .kernarg_segment_align: 8
    .kernarg_segment_size: 68
    .language:       OpenCL C
    .language_version:
      - 2
      - 0
    .max_flat_workgroup_size: 64
    .name:           _ZN7rocprim17ROCPRIM_304000_NS6detail20lookback_scan_kernelILNS1_25lookback_scan_determinismE0ELb0ENS1_19wrapped_scan_configINS0_14default_configEiEEPKiPlSt4plusIvEiiNS1_19lookback_scan_stateIiLb0ELb1EEEEEvT2_T3_mT5_T4_T7_jPT6_SK_bb
    .private_segment_fixed_size: 0
    .sgpr_count:     37
    .sgpr_spill_count: 0
    .symbol:         _ZN7rocprim17ROCPRIM_304000_NS6detail20lookback_scan_kernelILNS1_25lookback_scan_determinismE0ELb0ENS1_19wrapped_scan_configINS0_14default_configEiEEPKiPlSt4plusIvEiiNS1_19lookback_scan_stateIiLb0ELb1EEEEEvT2_T3_mT5_T4_T7_jPT6_SK_bb.kd
    .uniform_work_group_size: 1
    .uses_dynamic_stack: false
    .vgpr_count:     70
    .vgpr_spill_count: 0
    .wavefront_size: 32
    .workgroup_processor_mode: 1
  - .args:
      - .address_space:  global
        .offset:         0
        .size:           8
        .value_kind:     global_buffer
      - .offset:         8
        .size:           8
        .value_kind:     by_value
      - .offset:         16
        .size:           4
        .value_kind:     by_value
      - .address_space:  global
        .offset:         24
        .size:           8
        .value_kind:     global_buffer
      - .offset:         32
        .size:           1
        .value_kind:     by_value
    .group_segment_fixed_size: 4224
    .kernarg_segment_align: 8
    .kernarg_segment_size: 36
    .language:       OpenCL C
    .language_version:
      - 2
      - 0
    .max_flat_workgroup_size: 64
    .name:           _ZN7rocprim17ROCPRIM_304000_NS6detail18single_scan_kernelILb0ENS1_19wrapped_scan_configINS0_14default_configEiEEPKiPlSt4plusIvEiiEEvT1_mT4_T2_T3_
    .private_segment_fixed_size: 0
    .sgpr_count:     26
    .sgpr_spill_count: 0
    .symbol:         _ZN7rocprim17ROCPRIM_304000_NS6detail18single_scan_kernelILb0ENS1_19wrapped_scan_configINS0_14default_configEiEEPKiPlSt4plusIvEiiEEvT1_mT4_T2_T3_.kd
    .uniform_work_group_size: 1
    .uses_dynamic_stack: false
    .vgpr_count:     43
    .vgpr_spill_count: 0
    .wavefront_size: 32
    .workgroup_processor_mode: 1
  - .args:
      - .address_space:  global
        .offset:         0
        .size:           8
        .value_kind:     global_buffer
      - .address_space:  global
        .offset:         8
        .size:           8
        .value_kind:     global_buffer
      - .offset:         16
        .size:           8
        .value_kind:     by_value
      - .offset:         24
        .size:           4
        .value_kind:     by_value
      - .offset:         28
        .size:           1
        .value_kind:     by_value
      - .address_space:  global
        .offset:         32
        .size:           8
        .value_kind:     global_buffer
      - .offset:         40
        .size:           4
        .value_kind:     by_value
      - .address_space:  global
        .offset:         48
        .size:           8
        .value_kind:     global_buffer
      - .address_space:  global
        .offset:         56
        .size:           8
        .value_kind:     global_buffer
      - .offset:         64
        .size:           1
        .value_kind:     by_value
      - .offset:         65
        .size:           1
        .value_kind:     by_value
    .group_segment_fixed_size: 0
    .kernarg_segment_align: 8
    .kernarg_segment_size: 68
    .language:       OpenCL C
    .language_version:
      - 2
      - 0
    .max_flat_workgroup_size: 64
    .name:           _ZN7rocprim17ROCPRIM_304000_NS6detail20lookback_scan_kernelILNS1_25lookback_scan_determinismE0ELb1ENS1_19wrapped_scan_configINS0_14default_configEiEEPKiPiN2at4cuda3cub12_GLOBAL__N_15SumOpIiEEiiNS1_19lookback_scan_stateIiLb1ELb1EEEEEvT2_T3_mT5_T4_T7_jPT6_SO_bb
    .private_segment_fixed_size: 0
    .sgpr_count:     0
    .sgpr_spill_count: 0
    .symbol:         _ZN7rocprim17ROCPRIM_304000_NS6detail20lookback_scan_kernelILNS1_25lookback_scan_determinismE0ELb1ENS1_19wrapped_scan_configINS0_14default_configEiEEPKiPiN2at4cuda3cub12_GLOBAL__N_15SumOpIiEEiiNS1_19lookback_scan_stateIiLb1ELb1EEEEEvT2_T3_mT5_T4_T7_jPT6_SO_bb.kd
    .uniform_work_group_size: 1
    .uses_dynamic_stack: false
    .vgpr_count:     0
    .vgpr_spill_count: 0
    .wavefront_size: 32
    .workgroup_processor_mode: 1
  - .args:
      - .address_space:  global
        .offset:         0
        .size:           8
        .value_kind:     global_buffer
      - .address_space:  global
        .offset:         8
        .size:           8
        .value_kind:     global_buffer
      - .offset:         16
        .size:           8
        .value_kind:     by_value
      - .offset:         24
        .size:           4
        .value_kind:     by_value
      - .offset:         28
        .size:           1
        .value_kind:     by_value
      - .address_space:  global
        .offset:         32
        .size:           8
        .value_kind:     global_buffer
      - .offset:         40
        .size:           4
        .value_kind:     by_value
      - .address_space:  global
        .offset:         48
        .size:           8
        .value_kind:     global_buffer
      - .address_space:  global
        .offset:         56
        .size:           8
        .value_kind:     global_buffer
      - .offset:         64
        .size:           1
        .value_kind:     by_value
      - .offset:         65
        .size:           1
        .value_kind:     by_value
    .group_segment_fixed_size: 4224
    .kernarg_segment_align: 8
    .kernarg_segment_size: 68
    .language:       OpenCL C
    .language_version:
      - 2
      - 0
    .max_flat_workgroup_size: 64
    .name:           _ZN7rocprim17ROCPRIM_304000_NS6detail20lookback_scan_kernelILNS1_25lookback_scan_determinismE0ELb1ENS1_19wrapped_scan_configINS0_14default_configEiEEPKiPiN2at4cuda3cub12_GLOBAL__N_15SumOpIiEEiiNS1_19lookback_scan_stateIiLb0ELb1EEEEEvT2_T3_mT5_T4_T7_jPT6_SO_bb
    .private_segment_fixed_size: 0
    .sgpr_count:     37
    .sgpr_spill_count: 0
    .symbol:         _ZN7rocprim17ROCPRIM_304000_NS6detail20lookback_scan_kernelILNS1_25lookback_scan_determinismE0ELb1ENS1_19wrapped_scan_configINS0_14default_configEiEEPKiPiN2at4cuda3cub12_GLOBAL__N_15SumOpIiEEiiNS1_19lookback_scan_stateIiLb0ELb1EEEEEvT2_T3_mT5_T4_T7_jPT6_SO_bb.kd
    .uniform_work_group_size: 1
    .uses_dynamic_stack: false
    .vgpr_count:     57
    .vgpr_spill_count: 0
    .wavefront_size: 32
    .workgroup_processor_mode: 1
  - .args:
      - .address_space:  global
        .offset:         0
        .size:           8
        .value_kind:     global_buffer
      - .offset:         8
        .size:           8
        .value_kind:     by_value
      - .offset:         16
        .size:           4
        .value_kind:     by_value
      - .address_space:  global
        .offset:         24
        .size:           8
        .value_kind:     global_buffer
      - .offset:         32
        .size:           1
        .value_kind:     by_value
    .group_segment_fixed_size: 4224
    .kernarg_segment_align: 8
    .kernarg_segment_size: 36
    .language:       OpenCL C
    .language_version:
      - 2
      - 0
    .max_flat_workgroup_size: 64
    .name:           _ZN7rocprim17ROCPRIM_304000_NS6detail18single_scan_kernelILb1ENS1_19wrapped_scan_configINS0_14default_configEiEEPKiPiN2at4cuda3cub12_GLOBAL__N_15SumOpIiEEiiEEvT1_mT4_T2_T3_
    .private_segment_fixed_size: 0
    .sgpr_count:     26
    .sgpr_spill_count: 0
    .symbol:         _ZN7rocprim17ROCPRIM_304000_NS6detail18single_scan_kernelILb1ENS1_19wrapped_scan_configINS0_14default_configEiEEPKiPiN2at4cuda3cub12_GLOBAL__N_15SumOpIiEEiiEEvT1_mT4_T2_T3_.kd
    .uniform_work_group_size: 1
    .uses_dynamic_stack: false
    .vgpr_count:     43
    .vgpr_spill_count: 0
    .wavefront_size: 32
    .workgroup_processor_mode: 1
  - .args:
      - .address_space:  global
        .offset:         0
        .size:           8
        .value_kind:     global_buffer
      - .address_space:  global
        .offset:         8
        .size:           8
        .value_kind:     global_buffer
      - .offset:         16
        .size:           8
        .value_kind:     by_value
      - .offset:         24
        .size:           8
        .value_kind:     by_value
      - .offset:         32
        .size:           1
        .value_kind:     by_value
      - .address_space:  global
        .offset:         40
        .size:           8
        .value_kind:     global_buffer
      - .offset:         48
        .size:           4
        .value_kind:     by_value
      - .address_space:  global
        .offset:         56
        .size:           8
        .value_kind:     global_buffer
      - .address_space:  global
        .offset:         64
        .size:           8
        .value_kind:     global_buffer
      - .offset:         72
        .size:           1
        .value_kind:     by_value
      - .offset:         73
        .size:           1
        .value_kind:     by_value
    .group_segment_fixed_size: 0
    .kernarg_segment_align: 8
    .kernarg_segment_size: 76
    .language:       OpenCL C
    .language_version:
      - 2
      - 0
    .max_flat_workgroup_size: 256
    .name:           _ZN7rocprim17ROCPRIM_304000_NS6detail20lookback_scan_kernelILNS1_25lookback_scan_determinismE0ELb1ENS1_19wrapped_scan_configINS0_14default_configElEEPKlPlN2at4cuda3cub12_GLOBAL__N_15SumOpIlEEllNS1_19lookback_scan_stateIlLb1ELb1EEEEEvT2_T3_mT5_T4_T7_jPT6_SO_bb
    .private_segment_fixed_size: 0
    .sgpr_count:     0
    .sgpr_spill_count: 0
    .symbol:         _ZN7rocprim17ROCPRIM_304000_NS6detail20lookback_scan_kernelILNS1_25lookback_scan_determinismE0ELb1ENS1_19wrapped_scan_configINS0_14default_configElEEPKlPlN2at4cuda3cub12_GLOBAL__N_15SumOpIlEEllNS1_19lookback_scan_stateIlLb1ELb1EEEEEvT2_T3_mT5_T4_T7_jPT6_SO_bb.kd
    .uniform_work_group_size: 1
    .uses_dynamic_stack: false
    .vgpr_count:     0
    .vgpr_spill_count: 0
    .wavefront_size: 32
    .workgroup_processor_mode: 1
  - .args:
      - .address_space:  global
        .offset:         0
        .size:           8
        .value_kind:     global_buffer
      - .address_space:  global
        .offset:         8
        .size:           8
        .value_kind:     global_buffer
      - .offset:         16
        .size:           8
        .value_kind:     by_value
      - .offset:         24
        .size:           8
        .value_kind:     by_value
      - .offset:         32
        .size:           1
        .value_kind:     by_value
      - .address_space:  global
        .offset:         40
        .size:           8
        .value_kind:     global_buffer
      - .offset:         48
        .size:           4
        .value_kind:     by_value
      - .address_space:  global
        .offset:         56
        .size:           8
        .value_kind:     global_buffer
      - .address_space:  global
        .offset:         64
        .size:           8
        .value_kind:     global_buffer
      - .offset:         72
        .size:           1
        .value_kind:     by_value
      - .offset:         73
        .size:           1
        .value_kind:     by_value
    .group_segment_fixed_size: 33792
    .kernarg_segment_align: 8
    .kernarg_segment_size: 76
    .language:       OpenCL C
    .language_version:
      - 2
      - 0
    .max_flat_workgroup_size: 256
    .name:           _ZN7rocprim17ROCPRIM_304000_NS6detail20lookback_scan_kernelILNS1_25lookback_scan_determinismE0ELb1ENS1_19wrapped_scan_configINS0_14default_configElEEPKlPlN2at4cuda3cub12_GLOBAL__N_15SumOpIlEEllNS1_19lookback_scan_stateIlLb0ELb1EEEEEvT2_T3_mT5_T4_T7_jPT6_SO_bb
    .private_segment_fixed_size: 0
    .sgpr_count:     70
    .sgpr_spill_count: 0
    .symbol:         _ZN7rocprim17ROCPRIM_304000_NS6detail20lookback_scan_kernelILNS1_25lookback_scan_determinismE0ELb1ENS1_19wrapped_scan_configINS0_14default_configElEEPKlPlN2at4cuda3cub12_GLOBAL__N_15SumOpIlEEllNS1_19lookback_scan_stateIlLb0ELb1EEEEEvT2_T3_mT5_T4_T7_jPT6_SO_bb.kd
    .uniform_work_group_size: 1
    .uses_dynamic_stack: false
    .vgpr_count:     96
    .vgpr_spill_count: 0
    .wavefront_size: 32
    .workgroup_processor_mode: 1
  - .args:
      - .address_space:  global
        .offset:         0
        .size:           8
        .value_kind:     global_buffer
      - .offset:         8
        .size:           8
        .value_kind:     by_value
      - .offset:         16
        .size:           8
        .value_kind:     by_value
      - .address_space:  global
        .offset:         24
        .size:           8
        .value_kind:     global_buffer
      - .offset:         32
        .size:           1
        .value_kind:     by_value
    .group_segment_fixed_size: 33792
    .kernarg_segment_align: 8
    .kernarg_segment_size: 36
    .language:       OpenCL C
    .language_version:
      - 2
      - 0
    .max_flat_workgroup_size: 256
    .name:           _ZN7rocprim17ROCPRIM_304000_NS6detail18single_scan_kernelILb1ENS1_19wrapped_scan_configINS0_14default_configElEEPKlPlN2at4cuda3cub12_GLOBAL__N_15SumOpIlEEllEEvT1_mT4_T2_T3_
    .private_segment_fixed_size: 0
    .sgpr_count:     46
    .sgpr_spill_count: 0
    .symbol:         _ZN7rocprim17ROCPRIM_304000_NS6detail18single_scan_kernelILb1ENS1_19wrapped_scan_configINS0_14default_configElEEPKlPlN2at4cuda3cub12_GLOBAL__N_15SumOpIlEEllEEvT1_mT4_T2_T3_.kd
    .uniform_work_group_size: 1
    .uses_dynamic_stack: false
    .vgpr_count:     77
    .vgpr_spill_count: 0
    .wavefront_size: 32
    .workgroup_processor_mode: 1
  - .args:
      - .offset:         0
        .size:           16
        .value_kind:     by_value
      - .address_space:  global
        .offset:         16
        .size:           8
        .value_kind:     global_buffer
      - .offset:         24
        .size:           8
        .value_kind:     by_value
      - .offset:         32
        .size:           8
        .value_kind:     by_value
      - .offset:         40
        .size:           1
        .value_kind:     by_value
      - .address_space:  global
        .offset:         48
        .size:           8
        .value_kind:     global_buffer
      - .offset:         56
        .size:           4
        .value_kind:     by_value
      - .address_space:  global
        .offset:         64
        .size:           8
        .value_kind:     global_buffer
      - .address_space:  global
        .offset:         72
        .size:           8
        .value_kind:     global_buffer
      - .offset:         80
        .size:           1
        .value_kind:     by_value
      - .offset:         81
        .size:           1
        .value_kind:     by_value
    .group_segment_fixed_size: 0
    .kernarg_segment_align: 8
    .kernarg_segment_size: 84
    .language:       OpenCL C
    .language_version:
      - 2
      - 0
    .max_flat_workgroup_size: 256
    .name:           _ZN7rocprim17ROCPRIM_304000_NS6detail20lookback_scan_kernelILNS1_25lookback_scan_determinismE0ELb1ENS1_19wrapped_scan_configINS0_14default_configElEEN6hipcub22TransformInputIteratorIbN2at4cuda3cub12_GLOBAL__N_111CountMaskOpEPKhlEEPlNSC_5SumOpIlEEllNS1_19lookback_scan_stateIlLb1ELb1EEEEEvT2_T3_mT5_T4_T7_jPT6_SS_bb
    .private_segment_fixed_size: 0
    .sgpr_count:     0
    .sgpr_spill_count: 0
    .symbol:         _ZN7rocprim17ROCPRIM_304000_NS6detail20lookback_scan_kernelILNS1_25lookback_scan_determinismE0ELb1ENS1_19wrapped_scan_configINS0_14default_configElEEN6hipcub22TransformInputIteratorIbN2at4cuda3cub12_GLOBAL__N_111CountMaskOpEPKhlEEPlNSC_5SumOpIlEEllNS1_19lookback_scan_stateIlLb1ELb1EEEEEvT2_T3_mT5_T4_T7_jPT6_SS_bb.kd
    .uniform_work_group_size: 1
    .uses_dynamic_stack: false
    .vgpr_count:     0
    .vgpr_spill_count: 0
    .wavefront_size: 32
    .workgroup_processor_mode: 1
  - .args:
      - .offset:         0
        .size:           16
        .value_kind:     by_value
      - .address_space:  global
        .offset:         16
        .size:           8
        .value_kind:     global_buffer
      - .offset:         24
        .size:           8
        .value_kind:     by_value
      - .offset:         32
        .size:           8
        .value_kind:     by_value
      - .offset:         40
        .size:           1
        .value_kind:     by_value
      - .address_space:  global
        .offset:         48
        .size:           8
        .value_kind:     global_buffer
      - .offset:         56
        .size:           4
        .value_kind:     by_value
      - .address_space:  global
        .offset:         64
        .size:           8
        .value_kind:     global_buffer
      - .address_space:  global
        .offset:         72
        .size:           8
        .value_kind:     global_buffer
      - .offset:         80
        .size:           1
        .value_kind:     by_value
      - .offset:         81
        .size:           1
        .value_kind:     by_value
    .group_segment_fixed_size: 33792
    .kernarg_segment_align: 8
    .kernarg_segment_size: 84
    .language:       OpenCL C
    .language_version:
      - 2
      - 0
    .max_flat_workgroup_size: 256
    .name:           _ZN7rocprim17ROCPRIM_304000_NS6detail20lookback_scan_kernelILNS1_25lookback_scan_determinismE0ELb1ENS1_19wrapped_scan_configINS0_14default_configElEEN6hipcub22TransformInputIteratorIbN2at4cuda3cub12_GLOBAL__N_111CountMaskOpEPKhlEEPlNSC_5SumOpIlEEllNS1_19lookback_scan_stateIlLb0ELb1EEEEEvT2_T3_mT5_T4_T7_jPT6_SS_bb
    .private_segment_fixed_size: 0
    .sgpr_count:     26
    .sgpr_spill_count: 0
    .symbol:         _ZN7rocprim17ROCPRIM_304000_NS6detail20lookback_scan_kernelILNS1_25lookback_scan_determinismE0ELb1ENS1_19wrapped_scan_configINS0_14default_configElEEN6hipcub22TransformInputIteratorIbN2at4cuda3cub12_GLOBAL__N_111CountMaskOpEPKhlEEPlNSC_5SumOpIlEEllNS1_19lookback_scan_stateIlLb0ELb1EEEEEvT2_T3_mT5_T4_T7_jPT6_SS_bb.kd
    .uniform_work_group_size: 1
    .uses_dynamic_stack: false
    .vgpr_count:     96
    .vgpr_spill_count: 0
    .wavefront_size: 32
    .workgroup_processor_mode: 1
  - .args:
      - .offset:         0
        .size:           16
        .value_kind:     by_value
      - .offset:         16
        .size:           8
        .value_kind:     by_value
      - .offset:         24
        .size:           8
        .value_kind:     by_value
      - .address_space:  global
        .offset:         32
        .size:           8
        .value_kind:     global_buffer
      - .offset:         40
        .size:           1
        .value_kind:     by_value
    .group_segment_fixed_size: 33792
    .kernarg_segment_align: 8
    .kernarg_segment_size: 44
    .language:       OpenCL C
    .language_version:
      - 2
      - 0
    .max_flat_workgroup_size: 256
    .name:           _ZN7rocprim17ROCPRIM_304000_NS6detail18single_scan_kernelILb1ENS1_19wrapped_scan_configINS0_14default_configElEEN6hipcub22TransformInputIteratorIbN2at4cuda3cub12_GLOBAL__N_111CountMaskOpEPKhlEEPlNSB_5SumOpIlEEllEEvT1_mT4_T2_T3_
    .private_segment_fixed_size: 0
    .sgpr_count:     26
    .sgpr_spill_count: 0
    .symbol:         _ZN7rocprim17ROCPRIM_304000_NS6detail18single_scan_kernelILb1ENS1_19wrapped_scan_configINS0_14default_configElEEN6hipcub22TransformInputIteratorIbN2at4cuda3cub12_GLOBAL__N_111CountMaskOpEPKhlEEPlNSB_5SumOpIlEEllEEvT1_mT4_T2_T3_.kd
    .uniform_work_group_size: 1
    .uses_dynamic_stack: false
    .vgpr_count:     77
    .vgpr_spill_count: 0
    .wavefront_size: 32
    .workgroup_processor_mode: 1
amdhsa.target:   amdgcn-amd-amdhsa--gfx1100
amdhsa.version:
  - 1
  - 2
...

	.end_amdgpu_metadata
